;; amdgpu-corpus repo=ROCm/rocFFT kind=compiled arch=gfx1030 opt=O3
	.text
	.amdgcn_target "amdgcn-amd-amdhsa--gfx1030"
	.amdhsa_code_object_version 6
	.protected	fft_rtc_fwd_len289_factors_17_17_wgs_119_tpt_17_dp_ip_CI_sbcc_twdbase5_3step_dirReg_intrinsicRead ; -- Begin function fft_rtc_fwd_len289_factors_17_17_wgs_119_tpt_17_dp_ip_CI_sbcc_twdbase5_3step_dirReg_intrinsicRead
	.globl	fft_rtc_fwd_len289_factors_17_17_wgs_119_tpt_17_dp_ip_CI_sbcc_twdbase5_3step_dirReg_intrinsicRead
	.p2align	8
	.type	fft_rtc_fwd_len289_factors_17_17_wgs_119_tpt_17_dp_ip_CI_sbcc_twdbase5_3step_dirReg_intrinsicRead,@function
fft_rtc_fwd_len289_factors_17_17_wgs_119_tpt_17_dp_ip_CI_sbcc_twdbase5_3step_dirReg_intrinsicRead: ; @fft_rtc_fwd_len289_factors_17_17_wgs_119_tpt_17_dp_ip_CI_sbcc_twdbase5_3step_dirReg_intrinsicRead
; %bb.0:
	s_load_dwordx8 s[8:15], s[4:5], 0x8
	s_mov_b64 s[62:63], s[2:3]
	s_mov_b64 s[60:61], s[0:1]
	v_mov_b32_e32 v255, v0
	s_add_u32 s60, s60, s7
	s_addc_u32 s61, s61, 0
	s_mov_b32 s0, exec_lo
	v_cmpx_gt_u32_e32 0x60, v255
	s_cbranch_execz .LBB0_2
; %bb.1:
	v_lshlrev_b32_e32 v4, 4, v255
	s_waitcnt lgkmcnt(0)
	global_load_dwordx4 v[0:3], v4, s[8:9]
	v_add3_u32 v4, 0, v4, 0x7e70
	s_waitcnt vmcnt(0)
	ds_write2_b64 v4, v[0:1], v[2:3] offset1:1
.LBB0_2:
	s_or_b32 exec_lo, exec_lo, s0
	s_waitcnt lgkmcnt(0)
	s_load_dwordx2 s[18:19], s[12:13], 0x8
	s_mov_b64 s[22:23], 0
	s_waitcnt lgkmcnt(0)
	s_add_u32 s0, s18, -1
	s_addc_u32 s1, s19, -1
	s_add_u32 s2, 0, 0x92481000
	s_addc_u32 s3, 0, 0x64
	s_mul_hi_u32 s8, s2, -7
	s_add_i32 s3, s3, 0x249248c0
	s_sub_i32 s8, s8, s2
	s_mul_i32 s16, s3, -7
	s_mul_i32 s7, s2, -7
	s_add_i32 s8, s8, s16
	s_mul_hi_u32 s9, s2, s7
	s_mul_i32 s20, s2, s8
	s_mul_hi_u32 s16, s2, s8
	s_mul_hi_u32 s17, s3, s7
	s_mul_i32 s7, s3, s7
	s_add_u32 s9, s9, s20
	s_addc_u32 s16, 0, s16
	s_mul_hi_u32 s21, s3, s8
	s_add_u32 s7, s9, s7
	s_mul_i32 s8, s3, s8
	s_addc_u32 s7, s16, s17
	s_addc_u32 s9, s21, 0
	s_add_u32 s7, s7, s8
	v_add_co_u32 v0, s2, s2, s7
	s_addc_u32 s7, 0, s9
	s_cmp_lg_u32 s2, 0
	s_addc_u32 s2, s3, s7
	v_readfirstlane_b32 s3, v0
	s_mul_i32 s8, s0, s2
	s_mul_hi_u32 s7, s0, s2
	s_mul_hi_u32 s9, s1, s2
	s_mul_i32 s2, s1, s2
	s_mul_hi_u32 s16, s0, s3
	s_mul_hi_u32 s17, s1, s3
	s_mul_i32 s3, s1, s3
	s_add_u32 s8, s16, s8
	s_addc_u32 s7, 0, s7
	s_add_u32 s3, s8, s3
	s_addc_u32 s3, s7, s17
	s_addc_u32 s7, s9, 0
	s_add_u32 s2, s3, s2
	s_addc_u32 s3, 0, s7
	s_mul_i32 s8, s2, 7
	s_add_u32 s7, s2, 1
	v_sub_co_u32 v0, s0, s0, s8
	s_mul_hi_u32 s8, s2, 7
	s_addc_u32 s9, s3, 0
	s_mul_i32 s16, s3, 7
	v_sub_co_u32 v1, s17, v0, 7
	s_add_u32 s20, s2, 2
	s_addc_u32 s21, s3, 0
	s_add_i32 s8, s8, s16
	s_cmp_lg_u32 s0, 0
	v_readfirstlane_b32 s0, v1
	s_subb_u32 s1, s1, s8
	s_cmp_lg_u32 s17, 0
	s_subb_u32 s8, s1, 0
	s_cmp_gt_u32 s0, 6
	s_cselect_b32 s0, -1, 0
	s_cmp_eq_u32 s8, 0
	v_readfirstlane_b32 s8, v0
	s_cselect_b32 s0, s0, -1
	s_cmp_lg_u32 s0, 0
	s_cselect_b32 s0, s20, s7
	s_cselect_b32 s9, s21, s9
	s_cmp_gt_u32 s8, 6
	s_cselect_b32 s7, -1, 0
	s_cmp_eq_u32 s1, 0
	s_cselect_b32 s1, s7, -1
	s_mov_b32 s7, 0
	s_cmp_lg_u32 s1, 0
	s_cselect_b32 s0, s0, s2
	s_cselect_b32 s1, s9, s3
	s_add_u32 s20, s0, 1
	s_addc_u32 s21, s1, 0
	v_cmp_lt_u64_e64 s0, s[6:7], s[20:21]
	s_and_b32 vcc_lo, exec_lo, s0
	s_cbranch_vccnz .LBB0_4
; %bb.3:
	v_cvt_f32_u32_e32 v0, s20
	s_sub_i32 s1, 0, s20
	s_mov_b32 s23, s7
	v_rcp_iflag_f32_e32 v0, v0
	v_mul_f32_e32 v0, 0x4f7ffffe, v0
	v_cvt_u32_f32_e32 v0, v0
	v_readfirstlane_b32 s0, v0
	s_mul_i32 s1, s1, s0
	s_mul_hi_u32 s1, s0, s1
	s_add_i32 s0, s0, s1
	s_mul_hi_u32 s0, s6, s0
	s_mul_i32 s1, s0, s20
	s_add_i32 s2, s0, 1
	s_sub_i32 s1, s6, s1
	s_sub_i32 s3, s1, s20
	s_cmp_ge_u32 s1, s20
	s_cselect_b32 s0, s2, s0
	s_cselect_b32 s1, s3, s1
	s_add_i32 s2, s0, 1
	s_cmp_ge_u32 s1, s20
	s_cselect_b32 s22, s2, s0
.LBB0_4:
	s_load_dwordx4 s[0:3], s[14:15], 0x0
	s_clause 0x1
	s_load_dwordx2 s[8:9], s[4:5], 0x58
	s_load_dwordx2 s[16:17], s[4:5], 0x0
	s_mul_i32 s4, s22, s21
	s_mul_hi_u32 s5, s22, s20
	s_mul_i32 s24, s22, s20
	s_add_i32 s5, s5, s4
	s_sub_u32 s34, s6, s24
	s_subb_u32 s4, 0, s5
	s_mul_hi_u32 s33, s34, 7
	s_mul_i32 s4, s4, 7
	v_cmp_lt_u64_e64 s25, s[10:11], 3
	s_mul_i32 s34, s34, 7
	s_add_i32 s33, s33, s4
	s_and_b32 vcc_lo, exec_lo, s25
	s_waitcnt lgkmcnt(0)
	s_mul_i32 s4, s2, s33
	s_mul_hi_u32 s5, s2, s34
	s_mul_i32 s24, s3, s34
	s_add_i32 s4, s5, s4
	s_mul_i32 s35, s2, s34
	s_add_i32 s36, s4, s24
	s_cbranch_vccnz .LBB0_14
; %bb.5:
	s_add_u32 s4, s14, 16
	s_addc_u32 s5, s15, 0
	s_add_u32 s12, s12, 16
	s_addc_u32 s13, s13, 0
	s_mov_b64 s[24:25], 2
	s_mov_b32 s26, 0
.LBB0_6:                                ; =>This Inner Loop Header: Depth=1
	s_load_dwordx2 s[28:29], s[12:13], 0x0
	s_waitcnt lgkmcnt(0)
	s_or_b64 s[30:31], s[22:23], s[28:29]
	s_mov_b32 s27, s31
                                        ; implicit-def: $sgpr30_sgpr31
	s_cmp_lg_u64 s[26:27], 0
	s_mov_b32 s27, -1
	s_cbranch_scc0 .LBB0_8
; %bb.7:                                ;   in Loop: Header=BB0_6 Depth=1
	v_cvt_f32_u32_e32 v0, s28
	v_cvt_f32_u32_e32 v1, s29
	s_sub_u32 s31, 0, s28
	s_subb_u32 s37, 0, s29
	v_fmac_f32_e32 v0, 0x4f800000, v1
	v_rcp_f32_e32 v0, v0
	v_mul_f32_e32 v0, 0x5f7ffffc, v0
	v_mul_f32_e32 v1, 0x2f800000, v0
	v_trunc_f32_e32 v1, v1
	v_fmac_f32_e32 v0, 0xcf800000, v1
	v_cvt_u32_f32_e32 v1, v1
	v_cvt_u32_f32_e32 v0, v0
	v_readfirstlane_b32 s27, v1
	v_readfirstlane_b32 s30, v0
	s_mul_i32 s38, s31, s27
	s_mul_hi_u32 s40, s31, s30
	s_mul_i32 s39, s37, s30
	s_add_i32 s38, s40, s38
	s_mul_i32 s41, s31, s30
	s_add_i32 s38, s38, s39
	s_mul_hi_u32 s40, s30, s41
	s_mul_hi_u32 s42, s27, s41
	s_mul_i32 s39, s27, s41
	s_mul_hi_u32 s41, s30, s38
	s_mul_i32 s30, s30, s38
	s_mul_hi_u32 s43, s27, s38
	s_add_u32 s30, s40, s30
	s_addc_u32 s40, 0, s41
	s_add_u32 s30, s30, s39
	s_mul_i32 s38, s27, s38
	s_addc_u32 s30, s40, s42
	s_addc_u32 s39, s43, 0
	s_add_u32 s30, s30, s38
	s_addc_u32 s38, 0, s39
	v_add_co_u32 v0, s30, v0, s30
	s_cmp_lg_u32 s30, 0
	s_addc_u32 s27, s27, s38
	v_readfirstlane_b32 s30, v0
	s_mul_i32 s38, s31, s27
	s_mul_hi_u32 s39, s31, s30
	s_mul_i32 s37, s37, s30
	s_add_i32 s38, s39, s38
	s_mul_i32 s31, s31, s30
	s_add_i32 s38, s38, s37
	s_mul_hi_u32 s39, s27, s31
	s_mul_i32 s40, s27, s31
	s_mul_hi_u32 s31, s30, s31
	s_mul_hi_u32 s41, s30, s38
	s_mul_i32 s30, s30, s38
	s_mul_hi_u32 s37, s27, s38
	s_add_u32 s30, s31, s30
	s_addc_u32 s31, 0, s41
	s_add_u32 s30, s30, s40
	s_mul_i32 s38, s27, s38
	s_addc_u32 s30, s31, s39
	s_addc_u32 s31, s37, 0
	s_add_u32 s30, s30, s38
	s_addc_u32 s31, 0, s31
	v_add_co_u32 v0, s30, v0, s30
	s_cmp_lg_u32 s30, 0
	s_addc_u32 s27, s27, s31
	v_readfirstlane_b32 s30, v0
	s_mul_i32 s37, s22, s27
	s_mul_hi_u32 s31, s22, s27
	s_mul_hi_u32 s38, s23, s27
	s_mul_i32 s27, s23, s27
	s_mul_hi_u32 s39, s22, s30
	s_mul_hi_u32 s40, s23, s30
	s_mul_i32 s30, s23, s30
	s_add_u32 s37, s39, s37
	s_addc_u32 s31, 0, s31
	s_add_u32 s30, s37, s30
	s_addc_u32 s30, s31, s40
	s_addc_u32 s31, s38, 0
	s_add_u32 s30, s30, s27
	s_addc_u32 s31, 0, s31
	s_mul_hi_u32 s27, s28, s30
	s_mul_i32 s38, s28, s31
	s_mul_i32 s39, s28, s30
	s_add_i32 s27, s27, s38
	v_sub_co_u32 v0, s38, s22, s39
	s_mul_i32 s37, s29, s30
	s_add_i32 s27, s27, s37
	v_sub_co_u32 v1, s39, v0, s28
	s_sub_i32 s37, s23, s27
	s_cmp_lg_u32 s38, 0
	s_subb_u32 s37, s37, s29
	s_cmp_lg_u32 s39, 0
	v_readfirstlane_b32 s39, v1
	s_subb_u32 s37, s37, 0
	s_cmp_ge_u32 s37, s29
	s_cselect_b32 s40, -1, 0
	s_cmp_ge_u32 s39, s28
	s_cselect_b32 s39, -1, 0
	s_cmp_eq_u32 s37, s29
	s_cselect_b32 s37, s39, s40
	s_add_u32 s39, s30, 1
	s_addc_u32 s40, s31, 0
	s_add_u32 s41, s30, 2
	s_addc_u32 s42, s31, 0
	s_cmp_lg_u32 s37, 0
	s_cselect_b32 s37, s41, s39
	s_cselect_b32 s39, s42, s40
	s_cmp_lg_u32 s38, 0
	v_readfirstlane_b32 s38, v0
	s_subb_u32 s27, s23, s27
	s_cmp_ge_u32 s27, s29
	s_cselect_b32 s40, -1, 0
	s_cmp_ge_u32 s38, s28
	s_cselect_b32 s38, -1, 0
	s_cmp_eq_u32 s27, s29
	s_cselect_b32 s27, s38, s40
	s_cmp_lg_u32 s27, 0
	s_mov_b32 s27, 0
	s_cselect_b32 s31, s39, s31
	s_cselect_b32 s30, s37, s30
.LBB0_8:                                ;   in Loop: Header=BB0_6 Depth=1
	s_andn2_b32 vcc_lo, exec_lo, s27
	s_cbranch_vccnz .LBB0_10
; %bb.9:                                ;   in Loop: Header=BB0_6 Depth=1
	v_cvt_f32_u32_e32 v0, s28
	s_sub_i32 s30, 0, s28
	v_rcp_iflag_f32_e32 v0, v0
	v_mul_f32_e32 v0, 0x4f7ffffe, v0
	v_cvt_u32_f32_e32 v0, v0
	v_readfirstlane_b32 s27, v0
	s_mul_i32 s30, s30, s27
	s_mul_hi_u32 s30, s27, s30
	s_add_i32 s27, s27, s30
	s_mul_hi_u32 s27, s22, s27
	s_mul_i32 s30, s27, s28
	s_add_i32 s31, s27, 1
	s_sub_i32 s30, s22, s30
	s_sub_i32 s37, s30, s28
	s_cmp_ge_u32 s30, s28
	s_cselect_b32 s27, s31, s27
	s_cselect_b32 s30, s37, s30
	s_add_i32 s31, s27, 1
	s_cmp_ge_u32 s30, s28
	s_cselect_b32 s30, s31, s27
	s_mov_b32 s31, s26
.LBB0_10:                               ;   in Loop: Header=BB0_6 Depth=1
	s_load_dwordx2 s[38:39], s[4:5], 0x0
	s_mul_i32 s21, s28, s21
	s_mul_hi_u32 s27, s28, s20
	s_mul_i32 s37, s29, s20
	s_mul_i32 s29, s30, s29
	s_mul_hi_u32 s40, s30, s28
	s_mul_i32 s41, s31, s28
	s_add_i32 s21, s27, s21
	s_add_i32 s27, s40, s29
	s_mul_i32 s42, s30, s28
	s_add_i32 s21, s21, s37
	s_add_i32 s27, s27, s41
	s_sub_u32 s22, s22, s42
	s_subb_u32 s23, s23, s27
	s_mul_i32 s20, s28, s20
	s_waitcnt lgkmcnt(0)
	s_mul_i32 s23, s38, s23
	s_mul_hi_u32 s27, s38, s22
	s_add_i32 s23, s27, s23
	s_mul_i32 s27, s39, s22
	s_mul_i32 s22, s38, s22
	s_add_i32 s23, s23, s27
	s_add_u32 s35, s22, s35
	s_addc_u32 s36, s23, s36
	s_add_u32 s24, s24, 1
	s_addc_u32 s25, s25, 0
	s_add_u32 s4, s4, 8
	v_cmp_ge_u64_e64 s22, s[24:25], s[10:11]
	s_addc_u32 s5, s5, 0
	s_add_u32 s12, s12, 8
	s_addc_u32 s13, s13, 0
	s_and_b32 vcc_lo, exec_lo, s22
	s_cbranch_vccnz .LBB0_12
; %bb.11:                               ;   in Loop: Header=BB0_6 Depth=1
	s_mov_b64 s[22:23], s[30:31]
	s_branch .LBB0_6
.LBB0_12:
	v_cmp_lt_u64_e64 s4, s[6:7], s[20:21]
	s_mov_b64 s[22:23], 0
	s_and_b32 vcc_lo, exec_lo, s4
	s_cbranch_vccnz .LBB0_14
; %bb.13:
	v_cvt_f32_u32_e32 v0, s20
	s_sub_i32 s5, 0, s20
	v_rcp_iflag_f32_e32 v0, v0
	v_mul_f32_e32 v0, 0x4f7ffffe, v0
	v_cvt_u32_f32_e32 v0, v0
	v_readfirstlane_b32 s4, v0
	s_mul_i32 s5, s5, s4
	s_mul_hi_u32 s5, s4, s5
	s_add_i32 s4, s4, s5
	s_mul_hi_u32 s4, s6, s4
	s_mul_i32 s5, s4, s20
	s_sub_i32 s5, s6, s5
	s_add_i32 s6, s4, 1
	s_sub_i32 s7, s5, s20
	s_cmp_ge_u32 s5, s20
	s_cselect_b32 s4, s6, s4
	s_cselect_b32 s5, s7, s5
	s_add_i32 s6, s4, 1
	s_cmp_ge_u32 s5, s20
	s_cselect_b32 s22, s6, s4
.LBB0_14:
	s_lshl_b64 s[4:5], s[10:11], 3
	v_mul_hi_u32 v0, 0x24924925, v255
	s_add_u32 s4, s14, s4
	s_addc_u32 s5, s15, s5
	s_mov_b32 s11, 0x31014000
	s_load_dwordx2 s[4:5], s[4:5], 0x0
	s_mov_b32 s10, -2
	s_mov_b32 s42, 0x5d8e7cdc
	s_mov_b32 s30, 0x7c9e640b
	v_mul_u32_u24_e32 v1, 7, v0
	v_add_nc_u32_e32 v2, 17, v0
	v_add_nc_u32_e32 v9, 34, v0
	;; [unrolled: 1-line block ×4, first 2 shown]
	v_sub_nc_u32_e32 v74, v255, v1
	v_mul_lo_u32 v1, s0, v0
	v_mul_lo_u32 v2, s0, v2
	;; [unrolled: 1-line block ×4, first 2 shown]
	v_mad_u64_u32 v[251:252], null, s2, v74, 0
	v_add_co_u32 v69, s6, s34, v74
	v_add_co_ci_u32_e64 v70, null, s33, 0, s6
	s_waitcnt lgkmcnt(0)
	s_mul_i32 s2, s5, s22
	s_mul_hi_u32 s5, s4, s22
	s_mul_i32 s4, s4, s22
	s_add_i32 s5, s5, s2
	s_add_u32 s4, s4, s35
	s_addc_u32 s5, s5, s36
	s_add_u32 s6, s34, 7
	s_addc_u32 s7, s33, 0
	v_cmp_gt_u64_e32 vcc_lo, s[18:19], v[69:70]
	v_cmp_le_u64_e64 s2, s[6:7], s[18:19]
	v_add_lshl_u32 v1, v251, v1, 4
	v_add_lshl_u32 v2, v251, v2, 4
	;; [unrolled: 1-line block ×4, first 2 shown]
	v_mul_lo_u32 v17, s0, v17
	s_or_b32 vcc_lo, s2, vcc_lo
	s_lshl_b32 s2, s4, 4
	v_cndmask_b32_e32 v1, -1, v1, vcc_lo
	v_cndmask_b32_e32 v5, -1, v2, vcc_lo
	;; [unrolled: 1-line block ×4, first 2 shown]
	s_clause 0x1
	buffer_load_dwordx4 v[1:4], v1, s[8:11], s2 offen
	buffer_load_dwordx4 v[5:8], v5, s[8:11], s2 offen
	v_add_lshl_u32 v17, v251, v17, 4
	s_clause 0x1
	buffer_load_dwordx4 v[9:12], v9, s[8:11], s2 offen
	buffer_load_dwordx4 v[13:16], v13, s[8:11], s2 offen
	v_add_nc_u32_e32 v21, 0x55, v0
	v_add_nc_u32_e32 v23, 0x88, v0
	v_cndmask_b32_e32 v17, -1, v17, vcc_lo
	v_add_nc_u32_e32 v24, 0x99, v0
	v_add_nc_u32_e32 v22, 0x77, v0
	v_mul_lo_u32 v25, s0, v21
	v_add_nc_u32_e32 v21, 0x66, v0
	buffer_load_dwordx4 v[17:20], v17, s[8:11], s2 offen
	v_mul_lo_u32 v23, s0, v23
	v_mul_lo_u32 v24, s0, v24
	v_add_nc_u32_e32 v26, 0xaa, v0
	v_mul_lo_u32 v21, s0, v21
	v_mul_lo_u32 v22, s0, v22
	v_add_lshl_u32 v25, v251, v25, 4
	v_add_nc_u32_e32 v27, 0xbb, v0
	v_add_nc_u32_e32 v28, 0xcc, v0
	v_add_lshl_u32 v23, v251, v23, 4
	v_add_lshl_u32 v24, v251, v24, 4
	v_cndmask_b32_e32 v25, -1, v25, vcc_lo
	v_add_lshl_u32 v21, v251, v21, 4
	v_add_lshl_u32 v22, v251, v22, 4
	v_cndmask_b32_e32 v23, -1, v23, vcc_lo
	v_cndmask_b32_e32 v24, -1, v24, vcc_lo
	buffer_load_dwordx4 v[57:60], v25, s[8:11], s2 offen
	v_cndmask_b32_e32 v21, -1, v21, vcc_lo
	s_clause 0x2
	buffer_load_dwordx4 v[65:68], v21, s[8:11], s2 offen
	buffer_load_dwordx4 v[53:56], v23, s[8:11], s2 offen
	buffer_load_dwordx4 v[49:52], v24, s[8:11], s2 offen
	v_mul_lo_u32 v25, s0, v26
	v_cndmask_b32_e32 v22, -1, v22, vcc_lo
	v_add_nc_u32_e32 v29, 0xdd, v0
	v_add_nc_u32_e32 v30, 0xee, v0
	;; [unrolled: 1-line block ×3, first 2 shown]
	v_mul_lo_u32 v26, s0, v27
	v_mul_lo_u32 v27, s0, v28
	;; [unrolled: 1-line block ×3, first 2 shown]
	v_add_lshl_u32 v25, v251, v25, 4
	v_mul_lo_u32 v29, s0, v30
	v_mul_lo_u32 v30, s0, v32
	v_add_nc_u32_e32 v31, 0xff, v0
	s_mov_b32 s36, 0x2a9d6da3
	v_cndmask_b32_e32 v25, -1, v25, vcc_lo
	s_clause 0x1
	buffer_load_dwordx4 v[61:64], v22, s[8:11], s2 offen
	buffer_load_dwordx4 v[45:48], v25, s[8:11], s2 offen
	v_add_lshl_u32 v26, v251, v26, 4
	v_add_lshl_u32 v21, v251, v30, 4
	;; [unrolled: 1-line block ×4, first 2 shown]
	s_mov_b32 s26, 0xeb564b22
	v_cndmask_b32_e32 v23, -1, v26, vcc_lo
	v_cndmask_b32_e32 v21, -1, v21, vcc_lo
	;; [unrolled: 1-line block ×4, first 2 shown]
	v_mul_lo_u32 v26, s0, v31
	s_clause 0x2
	buffer_load_dwordx4 v[41:44], v23, s[8:11], s2 offen
	buffer_load_dwordx4 v[21:24], v21, s[8:11], s2 offen
	;; [unrolled: 1-line block ×3, first 2 shown]
	v_add_lshl_u32 v25, v251, v29, 4
	buffer_load_dwordx4 v[33:36], v27, s[8:11], s2 offen
	s_mov_b32 s20, 0x923c349f
	s_mov_b32 s14, 0x6c9a05f6
	s_mov_b32 s6, 0xacd6c6b4
	v_add_lshl_u32 v26, v251, v26, 4
	v_cndmask_b32_e32 v25, -1, v25, vcc_lo
	s_mov_b32 s43, 0xbfd71e95
	s_mov_b32 s37, 0xbfe58eea
	;; [unrolled: 1-line block ×3, first 2 shown]
	v_cndmask_b32_e32 v26, -1, v26, vcc_lo
	s_clause 0x1
	buffer_load_dwordx4 v[29:32], v25, s[8:11], s2 offen
	buffer_load_dwordx4 v[25:28], v26, s[8:11], s2 offen
	s_mov_b32 s10, 0x4363dd80
	s_mov_b32 s27, 0xbfefdd0d
	;; [unrolled: 1-line block ×38, first 2 shown]
	v_mul_u32_u24_e32 v73, 0x770, v0
	s_waitcnt vmcnt(15)
	v_add_f64 v[75:76], v[3:4], v[7:8]
	v_add_f64 v[70:71], v[1:2], v[5:6]
	s_waitcnt vmcnt(14)
	v_add_f64 v[75:76], v[75:76], v[11:12]
	v_add_f64 v[70:71], v[70:71], v[9:10]
	s_waitcnt vmcnt(8)
	v_add_f64 v[81:82], v[53:54], -v[49:50]
	v_add_f64 v[83:84], v[55:56], -v[51:52]
	v_add_f64 v[75:76], v[75:76], v[15:16]
	v_add_f64 v[70:71], v[70:71], v[13:14]
	s_waitcnt vmcnt(6)
	v_add_f64 v[79:80], v[63:64], v[47:48]
	v_add_f64 v[91:92], v[63:64], -v[47:48]
	v_add_f64 v[77:78], v[61:62], v[45:46]
	v_add_f64 v[89:90], v[61:62], -v[45:46]
	s_waitcnt vmcnt(4)
	v_add_f64 v[107:108], v[7:8], -v[23:24]
	v_add_f64 v[127:128], v[7:8], v[23:24]
	v_add_f64 v[125:126], v[5:6], v[21:22]
	;; [unrolled: 1-line block ×5, first 2 shown]
	v_add_f64 v[95:96], v[67:68], -v[43:44]
	v_add_f64 v[85:86], v[65:66], v[41:42]
	v_add_f64 v[93:94], v[65:66], -v[41:42]
	s_waitcnt vmcnt(3)
	v_add_f64 v[97:98], v[57:58], -v[37:38]
	v_add_f64 v[99:100], v[59:60], -v[39:40]
	s_waitcnt vmcnt(2)
	v_add_f64 v[101:102], v[17:18], -v[33:34]
	s_waitcnt vmcnt(0)
	v_add_f64 v[121:122], v[11:12], -v[27:28]
	v_add_f64 v[123:124], v[9:10], -v[25:26]
	v_add_f64 v[117:118], v[9:10], v[25:26]
	v_add_f64 v[119:120], v[11:12], v[27:28]
	v_mul_f64 v[11:12], v[83:84], s[44:45]
	v_mul_f64 v[9:10], v[89:90], s[46:47]
	;; [unrolled: 1-line block ×6, first 2 shown]
	v_add_f64 v[75:76], v[75:76], v[59:60]
	v_add_f64 v[70:71], v[70:71], v[57:58]
	v_mul_f64 v[137:138], v[107:108], s[20:21]
	v_mul_f64 v[139:140], v[107:108], s[14:15]
	;; [unrolled: 1-line block ×16, first 2 shown]
	v_fma_f64 v[211:212], v[125:126], s[12:13], -v[129:130]
	v_fma_f64 v[129:130], v[125:126], s[12:13], v[129:130]
	v_fma_f64 v[213:214], v[125:126], s[40:41], -v[131:132]
	v_fma_f64 v[131:132], v[125:126], s[40:41], v[131:132]
	v_add_f64 v[105:106], v[75:76], v[67:68]
	v_add_f64 v[103:104], v[70:71], v[65:66]
	;; [unrolled: 1-line block ×7, first 2 shown]
	v_add_f64 v[13:14], v[13:14], -v[29:30]
	v_fma_f64 v[215:216], v[125:126], s[22:23], -v[133:134]
	v_fma_f64 v[133:134], v[125:126], s[22:23], v[133:134]
	v_fma_f64 v[217:218], v[125:126], s[34:35], -v[135:136]
	v_fma_f64 v[135:136], v[125:126], s[34:35], v[135:136]
	v_fma_f64 v[219:220], v[125:126], s[38:39], -v[137:138]
	v_fma_f64 v[221:222], v[125:126], s[18:19], -v[143:144]
	v_mul_f64 v[199:200], v[121:122], s[50:51]
	v_mul_f64 v[201:202], v[123:124], s[50:51]
	v_mul_f64 v[203:204], v[121:122], s[48:49]
	v_mul_f64 v[205:206], v[123:124], s[48:49]
	v_fma_f64 v[239:240], v[117:118], s[28:29], -v[189:190]
	v_fma_f64 v[241:242], v[119:120], s[28:29], v[191:192]
	v_fma_f64 v[245:246], v[119:120], s[18:19], v[197:198]
	v_fma_f64 v[197:198], v[119:120], s[18:19], -v[197:198]
	v_add_f64 v[63:64], v[105:106], v[63:64]
	v_add_f64 v[103:104], v[103:104], v[61:62]
	v_add_f64 v[105:106], v[5:6], -v[21:22]
	v_add_f64 v[61:62], v[19:20], -v[35:36]
	v_add_f64 v[19:20], v[15:16], v[31:32]
	v_add_f64 v[15:16], v[15:16], -v[31:32]
	v_add_f64 v[211:212], v[1:2], v[211:212]
	v_mul_f64 v[167:168], v[13:14], s[30:31]
	v_add_f64 v[129:130], v[1:2], v[129:130]
	v_add_f64 v[215:216], v[1:2], v[215:216]
	v_fma_f64 v[235:236], v[117:118], s[34:35], -v[177:178]
	v_add_f64 v[135:136], v[1:2], v[135:136]
	v_fma_f64 v[177:178], v[117:118], s[34:35], v[177:178]
	v_add_f64 v[131:132], v[1:2], v[131:132]
	v_fma_f64 v[247:248], v[117:118], s[24:25], -v[199:200]
	v_mul_f64 v[179:180], v[123:124], s[26:27]
	v_mul_f64 v[195:196], v[13:14], s[52:53]
	v_fma_f64 v[189:190], v[117:118], s[28:29], v[189:190]
	v_fma_f64 v[191:192], v[119:120], s[28:29], -v[191:192]
	v_add_f64 v[133:134], v[1:2], v[133:134]
	v_add_f64 v[217:218], v[1:2], v[217:218]
	;; [unrolled: 1-line block ×5, first 2 shown]
	v_mul_f64 v[145:146], v[105:106], s[42:43]
	v_mul_f64 v[149:150], v[105:106], s[30:31]
	;; [unrolled: 1-line block ×11, first 2 shown]
	v_add_f64 v[215:216], v[239:240], v[215:216]
	v_mul_f64 v[239:240], v[15:16], s[48:49]
	v_add_f64 v[131:132], v[177:178], v[131:132]
	v_mul_f64 v[169:170], v[61:62], s[26:27]
	v_mul_f64 v[183:184], v[13:14], s[14:15]
	v_fma_f64 v[237:238], v[119:120], s[34:35], v[179:180]
	v_fma_f64 v[179:180], v[119:120], s[34:35], -v[179:180]
	v_add_f64 v[213:214], v[1:2], v[213:214]
	v_add_f64 v[221:222], v[1:2], v[221:222]
	;; [unrolled: 1-line block ×5, first 2 shown]
	v_fma_f64 v[225:226], v[127:128], s[22:23], v[149:150]
	v_fma_f64 v[227:228], v[127:128], s[34:35], v[151:152]
	v_fma_f64 v[151:152], v[127:128], s[34:35], -v[151:152]
	v_fma_f64 v[229:230], v[127:128], s[38:39], v[153:154]
	v_fma_f64 v[153:154], v[127:128], s[38:39], -v[153:154]
	;; [unrolled: 2-line block ×3, first 2 shown]
	v_fma_f64 v[149:150], v[127:128], s[22:23], -v[149:150]
	v_fma_f64 v[231:232], v[127:128], s[28:29], v[155:156]
	v_fma_f64 v[155:156], v[127:128], s[28:29], -v[155:156]
	v_fma_f64 v[233:234], v[127:128], s[24:25], v[157:158]
	v_mul_f64 v[185:186], v[61:62], s[6:7]
	v_add_f64 v[219:220], v[247:248], v[219:220]
	v_mul_f64 v[207:208], v[121:122], s[46:47]
	v_mul_f64 v[209:210], v[123:124], s[46:47]
	;; [unrolled: 1-line block ×4, first 2 shown]
	v_add_f64 v[213:214], v[235:236], v[213:214]
	v_mul_f64 v[103:104], v[95:96], s[14:15]
	v_add_f64 v[47:48], v[175:176], v[47:48]
	v_add_f64 v[45:46], v[173:174], v[45:46]
	v_mul_f64 v[175:176], v[121:122], s[6:7]
	v_add_f64 v[225:226], v[3:4], v[225:226]
	v_add_f64 v[227:228], v[3:4], v[227:228]
	;; [unrolled: 1-line block ×11, first 2 shown]
	v_mul_f64 v[173:174], v[61:62], s[48:49]
	v_mul_f64 v[121:122], v[121:122], s[44:45]
	;; [unrolled: 1-line block ×3, first 2 shown]
	v_add_f64 v[70:71], v[55:56], v[51:52]
	v_mul_f64 v[63:64], v[93:94], s[14:15]
	v_mul_f64 v[51:52], v[81:82], s[6:7]
	;; [unrolled: 1-line block ×4, first 2 shown]
	v_add_f64 v[43:44], v[47:48], v[43:44]
	v_add_f64 v[41:42], v[45:46], v[41:42]
	v_fma_f64 v[45:46], v[125:126], s[38:39], v[137:138]
	v_fma_f64 v[47:48], v[125:126], s[28:29], -v[139:140]
	v_fma_f64 v[137:138], v[125:126], s[28:29], v[139:140]
	v_fma_f64 v[139:140], v[125:126], s[24:25], -v[141:142]
	v_fma_f64 v[141:142], v[125:126], s[24:25], v[141:142]
	v_fma_f64 v[125:126], v[125:126], s[18:19], v[143:144]
	;; [unrolled: 1-line block ×3, first 2 shown]
	v_fma_f64 v[145:146], v[127:128], s[12:13], -v[145:146]
	v_fma_f64 v[243:244], v[117:118], s[18:19], -v[175:176]
	v_fma_f64 v[175:176], v[117:118], s[18:19], v[175:176]
	v_add_f64 v[225:226], v[241:242], v[225:226]
	v_mul_f64 v[241:242], v[13:14], s[48:49]
	v_add_f64 v[151:152], v[197:198], v[151:152]
	v_fma_f64 v[197:198], v[19:20], s[22:23], v[167:168]
	v_fma_f64 v[167:168], v[19:20], s[22:23], -v[167:168]
	v_add_f64 v[149:150], v[191:192], v[149:150]
	v_add_f64 v[227:228], v[245:246], v[227:228]
	;; [unrolled: 1-line block ×3, first 2 shown]
	v_mul_f64 v[191:192], v[101:102], s[44:45]
	v_add_f64 v[223:224], v[237:238], v[223:224]
	v_add_f64 v[39:40], v[43:44], v[39:40]
	;; [unrolled: 1-line block ×3, first 2 shown]
	v_fma_f64 v[41:42], v[127:128], s[24:25], -v[157:158]
	v_fma_f64 v[43:44], v[127:128], s[18:19], v[159:160]
	v_fma_f64 v[127:128], v[127:128], s[18:19], -v[159:160]
	v_fma_f64 v[157:158], v[117:118], s[40:41], -v[161:162]
	v_fma_f64 v[159:160], v[119:120], s[40:41], v[163:164]
	v_fma_f64 v[161:162], v[117:118], s[40:41], v[161:162]
	v_fma_f64 v[163:164], v[119:120], s[40:41], -v[163:164]
	v_add_f64 v[143:144], v[3:4], v[143:144]
	v_add_f64 v[145:146], v[3:4], v[145:146]
	;; [unrolled: 1-line block ×5, first 2 shown]
	v_fma_f64 v[175:176], v[17:18], s[22:23], -v[165:166]
	v_fma_f64 v[165:166], v[17:18], s[22:23], v[165:166]
	v_add_f64 v[47:48], v[1:2], v[47:48]
	v_add_f64 v[139:140], v[1:2], v[139:140]
	;; [unrolled: 1-line block ×4, first 2 shown]
	v_fma_f64 v[1:2], v[119:120], s[38:39], v[205:206]
	v_add_f64 v[217:218], v[243:244], v[217:218]
	v_add_f64 v[35:36], v[39:40], v[35:36]
	v_fma_f64 v[39:40], v[117:118], s[24:25], v[199:200]
	v_fma_f64 v[199:200], v[119:120], s[24:25], -v[201:202]
	v_add_f64 v[33:34], v[37:38], v[33:34]
	v_fma_f64 v[37:38], v[119:120], s[24:25], v[201:202]
	v_fma_f64 v[201:202], v[117:118], s[38:39], -v[203:204]
	v_add_f64 v[41:42], v[3:4], v[41:42]
	v_add_f64 v[43:44], v[3:4], v[43:44]
	;; [unrolled: 1-line block ×3, first 2 shown]
	v_fma_f64 v[3:4], v[117:118], s[38:39], v[203:204]
	v_fma_f64 v[203:204], v[119:120], s[38:39], -v[205:206]
	v_add_f64 v[157:158], v[157:158], v[211:212]
	v_add_f64 v[143:144], v[159:160], v[143:144]
	;; [unrolled: 1-line block ×4, first 2 shown]
	v_fma_f64 v[205:206], v[117:118], s[22:23], -v[207:208]
	v_mul_f64 v[211:212], v[99:100], s[54:55]
	v_mul_f64 v[243:244], v[99:100], s[30:31]
	;; [unrolled: 1-line block ×4, first 2 shown]
	v_add_f64 v[1:2], v[1:2], v[231:232]
	v_mul_f64 v[231:232], v[13:14], s[54:55]
	v_add_f64 v[31:32], v[35:36], v[31:32]
	v_add_f64 v[39:40], v[39:40], v[45:46]
	v_fma_f64 v[45:46], v[17:18], s[28:29], -v[181:182]
	v_add_f64 v[153:154], v[199:200], v[153:154]
	v_mul_f64 v[199:200], v[15:16], s[54:55]
	v_fma_f64 v[181:182], v[17:18], s[28:29], v[181:182]
	v_add_f64 v[47:48], v[201:202], v[47:48]
	v_fma_f64 v[201:202], v[19:20], s[28:29], v[183:184]
	v_fma_f64 v[183:184], v[19:20], s[28:29], -v[183:184]
	v_add_f64 v[137:138], v[3:4], v[137:138]
	v_fma_f64 v[3:4], v[17:18], s[18:19], -v[193:194]
	v_add_f64 v[155:156], v[203:204], v[155:156]
	v_mul_f64 v[203:204], v[15:16], s[42:43]
	v_add_f64 v[157:158], v[175:176], v[157:158]
	v_fma_f64 v[175:176], v[19:20], s[18:19], v[195:196]
	v_add_f64 v[143:144], v[197:198], v[143:144]
	v_mul_f64 v[197:198], v[13:14], s[42:43]
	v_fma_f64 v[193:194], v[17:18], s[18:19], v[193:194]
	v_fma_f64 v[195:196], v[19:20], s[18:19], -v[195:196]
	v_add_f64 v[129:130], v[165:166], v[129:130]
	v_fma_f64 v[165:166], v[17:18], s[38:39], -v[239:240]
	v_add_f64 v[145:146], v[167:168], v[145:146]
	v_fma_f64 v[167:168], v[19:20], s[38:39], v[241:242]
	v_fma_f64 v[239:240], v[17:18], s[38:39], v[239:240]
	v_fma_f64 v[241:242], v[19:20], s[38:39], -v[241:242]
	v_add_f64 v[29:30], v[33:34], v[29:30]
	v_fma_f64 v[33:34], v[119:120], s[22:23], v[209:210]
	v_add_f64 v[131:132], v[181:182], v[131:132]
	v_fma_f64 v[181:182], v[17:18], s[40:41], -v[199:200]
	v_fma_f64 v[199:200], v[17:18], s[40:41], v[199:200]
	v_fma_f64 v[35:36], v[117:118], s[12:13], -v[121:122]
	v_fma_f64 v[121:122], v[117:118], s[12:13], v[121:122]
	v_fma_f64 v[117:118], v[117:118], s[22:23], v[207:208]
	;; [unrolled: 1-line block ×3, first 2 shown]
	v_fma_f64 v[123:124], v[119:120], s[12:13], -v[123:124]
	v_fma_f64 v[119:120], v[119:120], s[22:23], -v[209:210]
	v_mul_f64 v[209:210], v[101:102], s[48:49]
	v_add_f64 v[147:148], v[183:184], v[147:148]
	v_fma_f64 v[183:184], v[19:20], s[40:41], v[231:232]
	v_add_f64 v[133:134], v[193:194], v[133:134]
	v_fma_f64 v[193:194], v[17:18], s[12:13], -v[203:204]
	v_add_f64 v[149:150], v[195:196], v[149:150]
	v_fma_f64 v[195:196], v[19:20], s[12:13], v[197:198]
	v_add_f64 v[165:166], v[165:166], v[217:218]
	v_fma_f64 v[217:218], v[57:58], s[34:35], -v[169:170]
	v_add_f64 v[167:168], v[167:168], v[227:228]
	v_fma_f64 v[227:228], v[59:60], s[34:35], v[171:172]
	v_fma_f64 v[169:170], v[57:58], s[34:35], v[169:170]
	v_fma_f64 v[171:172], v[59:60], s[34:35], -v[171:172]
	v_add_f64 v[135:136], v[239:240], v[135:136]
	v_mul_f64 v[239:240], v[61:62], s[30:31]
	v_add_f64 v[181:182], v[181:182], v[219:220]
	v_fma_f64 v[219:220], v[57:58], s[18:19], -v[185:186]
	v_fma_f64 v[185:186], v[57:58], s[18:19], v[185:186]
	v_fma_f64 v[231:232], v[19:20], s[40:41], -v[231:232]
	v_add_f64 v[151:152], v[241:242], v[151:152]
	v_mul_f64 v[241:242], v[101:102], s[30:31]
	v_add_f64 v[39:40], v[199:200], v[39:40]
	v_fma_f64 v[199:200], v[59:60], s[18:19], v[187:188]
	v_fma_f64 v[187:188], v[59:60], s[18:19], -v[187:188]
	v_add_f64 v[37:38], v[37:38], v[229:230]
	v_add_f64 v[3:4], v[3:4], v[215:216]
	;; [unrolled: 1-line block ×3, first 2 shown]
	v_fma_f64 v[193:194], v[57:58], s[38:39], -v[173:174]
	v_add_f64 v[1:2], v[195:196], v[1:2]
	v_mul_f64 v[195:196], v[61:62], s[10:11]
	v_fma_f64 v[173:174], v[57:58], s[38:39], v[173:174]
	v_add_f64 v[157:158], v[217:218], v[157:158]
	v_fma_f64 v[217:218], v[59:60], s[38:39], v[209:210]
	v_add_f64 v[129:130], v[169:170], v[129:130]
	v_fma_f64 v[169:170], v[57:58], s[12:13], -v[189:190]
	v_add_f64 v[145:146], v[171:172], v[145:146]
	v_fma_f64 v[171:172], v[59:60], s[12:13], v[191:192]
	v_add_f64 v[143:144], v[227:228], v[143:144]
	v_mul_f64 v[227:228], v[101:102], s[10:11]
	v_add_f64 v[131:132], v[185:186], v[131:132]
	v_fma_f64 v[185:186], v[57:58], s[22:23], -v[239:240]
	v_add_f64 v[153:154], v[231:232], v[153:154]
	v_fma_f64 v[209:210], v[59:60], s[38:39], -v[209:210]
	v_fma_f64 v[189:190], v[57:58], s[12:13], v[189:190]
	v_add_f64 v[45:46], v[45:46], v[213:214]
	v_add_f64 v[147:148], v[187:188], v[147:148]
	v_fma_f64 v[187:188], v[59:60], s[22:23], v[241:242]
	v_fma_f64 v[241:242], v[59:60], s[22:23], -v[241:242]
	v_add_f64 v[37:38], v[183:184], v[37:38]
	v_mul_f64 v[183:184], v[99:100], s[6:7]
	v_fma_f64 v[239:240], v[57:58], s[22:23], v[239:240]
	v_add_f64 v[201:202], v[201:202], v[223:224]
	v_add_f64 v[133:134], v[173:174], v[133:134]
	v_fma_f64 v[173:174], v[57:58], s[24:25], -v[195:196]
	v_add_f64 v[175:176], v[175:176], v[225:226]
	v_mul_f64 v[231:232], v[97:98], s[6:7]
	v_add_f64 v[165:166], v[169:170], v[165:166]
	v_fma_f64 v[169:170], v[65:66], s[38:39], -v[109:110]
	v_add_f64 v[167:168], v[171:172], v[167:168]
	v_fma_f64 v[171:172], v[67:68], s[38:39], v[111:112]
	v_fma_f64 v[109:110], v[65:66], s[38:39], v[109:110]
	v_fma_f64 v[111:112], v[67:68], s[38:39], -v[111:112]
	v_add_f64 v[181:182], v[185:186], v[181:182]
	v_fma_f64 v[185:186], v[65:66], s[24:25], -v[113:114]
	v_fma_f64 v[113:114], v[65:66], s[24:25], v[113:114]
	v_fma_f64 v[191:192], v[59:60], s[12:13], -v[191:192]
	v_add_f64 v[3:4], v[193:194], v[3:4]
	v_add_f64 v[149:150], v[209:210], v[149:150]
	v_fma_f64 v[209:210], v[59:60], s[24:25], v[227:228]
	v_add_f64 v[135:136], v[189:190], v[135:136]
	v_add_f64 v[153:154], v[241:242], v[153:154]
	v_mul_f64 v[241:242], v[97:98], s[58:59]
	v_add_f64 v[45:46], v[219:220], v[45:46]
	v_add_f64 v[39:40], v[239:240], v[39:40]
	v_mul_f64 v[161:162], v[95:96], s[42:43]
	v_add_f64 v[47:48], v[173:174], v[47:48]
	v_fma_f64 v[173:174], v[65:66], s[40:41], -v[211:212]
	v_mul_f64 v[163:164], v[93:94], s[42:43]
	v_add_f64 v[199:200], v[199:200], v[201:202]
	v_add_f64 v[175:176], v[217:218], v[175:176]
	v_add_f64 v[37:38], v[187:188], v[37:38]
	v_fma_f64 v[187:188], v[67:68], s[24:25], v[115:116]
	v_add_f64 v[109:110], v[109:110], v[129:130]
	v_fma_f64 v[129:130], v[65:66], s[22:23], -v[243:244]
	v_add_f64 v[111:112], v[111:112], v[145:146]
	v_fma_f64 v[145:146], v[67:68], s[22:23], v[245:246]
	v_fma_f64 v[243:244], v[65:66], s[22:23], v[243:244]
	v_add_f64 v[113:114], v[113:114], v[131:132]
	v_fma_f64 v[131:132], v[65:66], s[18:19], -v[183:184]
	v_fma_f64 v[183:184], v[65:66], s[18:19], v[183:184]
	v_add_f64 v[151:152], v[191:192], v[151:152]
	v_add_f64 v[1:2], v[209:210], v[1:2]
	v_fma_f64 v[209:210], v[67:68], s[40:41], v[159:160]
	v_add_f64 v[157:158], v[169:170], v[157:158]
	v_fma_f64 v[245:246], v[67:68], s[22:23], -v[245:246]
	v_mul_f64 v[247:248], v[95:96], s[10:11]
	v_mul_f64 v[239:240], v[99:100], s[58:59]
	v_fma_f64 v[115:116], v[67:68], s[24:25], -v[115:116]
	v_add_f64 v[3:4], v[173:174], v[3:4]
	v_fma_f64 v[173:174], v[67:68], s[18:19], v[231:232]
	v_fma_f64 v[231:232], v[67:68], s[18:19], -v[231:232]
	v_fma_f64 v[211:212], v[65:66], s[40:41], v[211:212]
	v_add_f64 v[45:46], v[185:186], v[45:46]
	v_add_f64 v[75:76], v[53:54], v[49:50]
	v_mul_f64 v[53:54], v[91:92], s[10:11]
	v_add_f64 v[129:130], v[129:130], v[165:166]
	v_fma_f64 v[165:166], v[67:68], s[34:35], v[241:242]
	v_add_f64 v[145:146], v[145:146], v[167:168]
	v_mul_f64 v[167:168], v[13:14], s[26:27]
	v_add_f64 v[13:14], v[243:244], v[135:136]
	v_fma_f64 v[135:136], v[85:86], s[28:29], -v[103:104]
	v_add_f64 v[39:40], v[183:184], v[39:40]
	v_fma_f64 v[183:184], v[85:86], s[38:39], -v[107:108]
	v_mul_f64 v[7:8], v[91:92], s[46:47]
	v_mul_f64 v[229:230], v[93:94], s[10:11]
	;; [unrolled: 1-line block ×4, first 2 shown]
	v_add_f64 v[143:144], v[171:172], v[143:144]
	v_fma_f64 v[159:160], v[67:68], s[40:41], -v[159:160]
	v_add_f64 v[187:188], v[187:188], v[199:200]
	v_add_f64 v[175:176], v[209:210], v[175:176]
	;; [unrolled: 1-line block ×3, first 2 shown]
	v_fma_f64 v[243:244], v[87:88], s[28:29], v[63:64]
	v_fma_f64 v[103:104], v[85:86], s[28:29], v[103:104]
	v_add_f64 v[153:154], v[231:232], v[153:154]
	v_fma_f64 v[231:232], v[87:88], s[38:39], v[105:106]
	v_fma_f64 v[107:108], v[85:86], s[38:39], v[107:108]
	v_fma_f64 v[245:246], v[70:71], s[18:19], -v[51:52]
	v_add_f64 v[1:2], v[165:166], v[1:2]
	v_fma_f64 v[165:166], v[70:71], s[18:19], v[51:52]
	v_mul_f64 v[5:6], v[81:82], s[44:45]
	v_mul_f64 v[169:170], v[95:96], s[36:37]
	v_add_f64 v[51:52], v[135:136], v[157:158]
	v_fma_f64 v[135:136], v[85:86], s[12:13], -v[161:162]
	v_fma_f64 v[157:158], v[87:88], s[12:13], v[163:164]
	v_add_f64 v[115:116], v[115:116], v[147:148]
	v_add_f64 v[133:134], v[211:212], v[133:134]
	v_fma_f64 v[211:212], v[65:66], s[34:35], -v[239:240]
	v_fma_f64 v[105:106], v[87:88], s[38:39], -v[105:106]
	v_add_f64 v[45:46], v[183:184], v[45:46]
	v_fma_f64 v[183:184], v[85:86], s[24:25], -v[247:248]
	v_mul_f64 v[235:236], v[91:92], s[26:27]
	v_fma_f64 v[63:64], v[87:88], s[28:29], -v[63:64]
	v_fma_f64 v[161:162], v[85:86], s[12:13], v[161:162]
	v_mul_f64 v[55:56], v[89:90], s[10:11]
	v_mul_f64 v[237:238], v[89:90], s[26:27]
	;; [unrolled: 1-line block ×5, first 2 shown]
	v_add_f64 v[149:150], v[159:160], v[149:150]
	v_add_f64 v[131:132], v[131:132], v[181:182]
	v_fma_f64 v[181:182], v[77:78], s[24:25], -v[53:54]
	v_add_f64 v[37:38], v[173:174], v[37:38]
	v_add_f64 v[143:144], v[243:244], v[143:144]
	;; [unrolled: 1-line block ×3, first 2 shown]
	v_fma_f64 v[109:110], v[77:78], s[22:23], -v[7:8]
	v_fma_f64 v[163:164], v[87:88], s[12:13], -v[163:164]
	v_add_f64 v[187:188], v[231:232], v[187:188]
	v_fma_f64 v[231:232], v[87:88], s[24:25], v[229:230]
	v_add_f64 v[107:108], v[107:108], v[113:114]
	v_fma_f64 v[113:114], v[75:76], s[12:13], -v[11:12]
	v_fma_f64 v[243:244], v[85:86], s[24:25], v[247:248]
	v_fma_f64 v[7:8], v[77:78], s[22:23], v[7:8]
	;; [unrolled: 1-line block ×3, first 2 shown]
	v_fma_f64 v[11:12], v[87:88], s[24:25], -v[229:230]
	v_add_f64 v[3:4], v[135:136], v[3:4]
	v_fma_f64 v[135:136], v[85:86], s[34:35], -v[219:220]
	v_add_f64 v[157:158], v[157:158], v[175:176]
	v_fma_f64 v[175:176], v[87:88], s[34:35], v[201:202]
	v_mul_f64 v[49:50], v[83:84], s[6:7]
	v_mul_f64 v[193:194], v[91:92], s[42:43]
	v_mul_f64 v[171:172], v[93:94], s[36:37]
	v_add_f64 v[47:48], v[211:212], v[47:48]
	v_fma_f64 v[53:54], v[77:78], s[24:25], v[53:54]
	v_add_f64 v[105:106], v[105:106], v[115:116]
	v_fma_f64 v[115:116], v[70:71], s[12:13], v[5:6]
	v_fma_f64 v[229:230], v[70:71], s[12:13], -v[5:6]
	v_fma_f64 v[5:6], v[85:86], s[34:35], v[219:220]
	v_fma_f64 v[201:202], v[87:88], s[34:35], -v[201:202]
	v_add_f64 v[129:130], v[183:184], v[129:130]
	v_fma_f64 v[183:184], v[85:86], s[40:41], -v[169:170]
	v_mul_f64 v[177:178], v[83:84], s[10:11]
	v_add_f64 v[63:64], v[63:64], v[111:112]
	v_fma_f64 v[111:112], v[79:80], s[22:23], v[9:10]
	v_add_f64 v[133:134], v[161:162], v[133:134]
	v_fma_f64 v[161:162], v[77:78], s[34:35], -v[235:236]
	v_mul_f64 v[159:160], v[15:16], s[26:27]
	v_fma_f64 v[173:174], v[79:80], s[24:25], v[55:56]
	v_fma_f64 v[55:56], v[79:80], s[24:25], -v[55:56]
	v_fma_f64 v[9:10], v[79:80], s[22:23], -v[9:10]
	v_add_f64 v[149:150], v[163:164], v[149:150]
	v_fma_f64 v[163:164], v[79:80], s[34:35], v[237:238]
	v_add_f64 v[145:146], v[231:232], v[145:146]
	v_add_f64 v[13:14], v[243:244], v[13:14]
	;; [unrolled: 1-line block ×3, first 2 shown]
	v_fma_f64 v[11:12], v[77:78], s[28:29], -v[213:214]
	v_add_f64 v[131:132], v[135:136], v[131:132]
	v_fma_f64 v[135:136], v[79:80], s[28:29], v[223:224]
	v_add_f64 v[37:38], v[175:176], v[37:38]
	v_fma_f64 v[213:214], v[77:78], s[28:29], v[213:214]
	;; [unrolled: 2-line block ×3, first 2 shown]
	v_add_f64 v[45:46], v[109:110], v[45:46]
	v_add_f64 v[7:8], v[7:8], v[107:108]
	;; [unrolled: 1-line block ×4, first 2 shown]
	v_mul_f64 v[15:16], v[15:16], s[10:11]
	v_fma_f64 v[211:212], v[75:76], s[18:19], -v[49:50]
	v_fma_f64 v[49:50], v[75:76], s[18:19], v[49:50]
	v_fma_f64 v[235:236], v[77:78], s[34:35], v[235:236]
	v_fma_f64 v[237:238], v[79:80], s[34:35], -v[237:238]
	v_add_f64 v[5:6], v[5:6], v[39:40]
	v_add_f64 v[153:154], v[201:202], v[153:154]
	v_fma_f64 v[201:202], v[77:78], s[12:13], -v[193:194]
	v_add_f64 v[47:48], v[183:184], v[47:48]
	v_fma_f64 v[183:184], v[87:88], s[40:41], v[171:172]
	v_add_f64 v[53:54], v[53:54], v[103:104]
	v_fma_f64 v[193:194], v[77:78], s[12:13], v[193:194]
	v_fma_f64 v[219:220], v[75:76], s[24:25], -v[177:178]
	v_add_f64 v[111:112], v[111:112], v[187:188]
	v_add_f64 v[107:108], v[161:162], v[3:4]
	v_add_f64 v[157:158], v[163:164], v[157:158]
	v_add_f64 v[163:164], v[55:56], v[63:64]
	v_add_f64 v[105:106], v[9:10], v[105:106]
	v_add_f64 v[63:64], v[11:12], v[129:130]
	v_add_f64 v[129:130], v[135:136], v[145:146]
	v_add_f64 v[135:136], v[213:214], v[13:14]
	v_add_f64 v[145:146], v[181:182], v[37:38]
	v_add_f64 v[9:10], v[113:114], v[45:46]
	v_add_f64 v[13:14], v[247:248], v[7:8]
	v_add_f64 v[21:22], v[29:30], v[21:22]
	v_add_f64 v[23:24], v[31:32], v[23:24]
	v_add_f64 v[7:8], v[205:206], v[139:140]
	v_add_f64 v[29:30], v[33:34], v[233:234]
	v_fma_f64 v[31:32], v[17:18], s[34:35], -v[159:160]
	v_fma_f64 v[33:34], v[19:20], s[34:35], v[167:168]
	v_mul_f64 v[37:38], v[61:62], s[56:57]
	v_mul_f64 v[45:46], v[101:102], s[56:57]
	v_fma_f64 v[203:204], v[17:18], s[12:13], v[203:204]
	v_fma_f64 v[197:198], v[19:20], s[12:13], -v[197:198]
	v_add_f64 v[161:162], v[183:184], v[1:2]
	v_add_f64 v[55:56], v[235:236], v[133:134]
	;; [unrolled: 1-line block ×8, first 2 shown]
	v_fma_f64 v[49:50], v[17:18], s[24:25], -v[15:16]
	v_fma_f64 v[51:52], v[19:20], s[24:25], v[249:250]
	v_mul_f64 v[53:54], v[61:62], s[54:55]
	v_mul_f64 v[61:62], v[101:102], s[54:55]
	v_add_f64 v[11:12], v[115:116], v[111:112]
	v_add_f64 v[25:26], v[219:220], v[107:108]
	;; [unrolled: 1-line block ×4, first 2 shown]
	v_fma_f64 v[15:16], v[17:18], s[24:25], v[15:16]
	v_fma_f64 v[111:112], v[19:20], s[24:25], -v[249:250]
	v_add_f64 v[113:114], v[117:118], v[141:142]
	v_add_f64 v[41:42], v[119:120], v[41:42]
	v_fma_f64 v[17:18], v[17:18], s[34:35], v[159:160]
	v_fma_f64 v[19:20], v[19:20], s[34:35], -v[167:168]
	v_add_f64 v[7:8], v[31:32], v[7:8]
	v_add_f64 v[29:30], v[33:34], v[29:30]
	v_fma_f64 v[31:32], v[57:58], s[28:29], -v[37:38]
	v_fma_f64 v[33:34], v[59:60], s[28:29], v[45:46]
	v_mul_f64 v[123:124], v[99:100], s[42:43]
	v_mul_f64 v[125:126], v[97:98], s[42:43]
	v_add_f64 v[115:116], v[203:204], v[137:138]
	v_add_f64 v[117:118], v[197:198], v[155:156]
	v_fma_f64 v[119:120], v[57:58], s[24:25], v[195:196]
	v_fma_f64 v[121:122], v[59:60], s[24:25], -v[227:228]
	v_add_f64 v[35:36], v[49:50], v[35:36]
	v_add_f64 v[43:44], v[51:52], v[43:44]
	v_fma_f64 v[49:50], v[57:58], s[40:41], -v[53:54]
	v_fma_f64 v[51:52], v[59:60], s[40:41], v[61:62]
	v_mul_f64 v[99:100], v[99:100], s[14:15]
	v_mul_f64 v[97:98], v[97:98], s[14:15]
	v_add_f64 v[15:16], v[15:16], v[101:102]
	v_add_f64 v[101:102], v[111:112], v[107:108]
	v_fma_f64 v[53:54], v[57:58], s[40:41], v[53:54]
	v_fma_f64 v[61:62], v[59:60], s[40:41], -v[61:62]
	v_add_f64 v[17:18], v[17:18], v[113:114]
	v_add_f64 v[19:20], v[19:20], v[41:42]
	v_fma_f64 v[37:38], v[57:58], s[28:29], v[37:38]
	v_fma_f64 v[41:42], v[59:60], s[28:29], -v[45:46]
	v_add_f64 v[7:8], v[31:32], v[7:8]
	v_add_f64 v[29:30], v[33:34], v[29:30]
	v_fma_f64 v[31:32], v[65:66], s[12:13], -v[123:124]
	v_fma_f64 v[33:34], v[67:68], s[12:13], v[125:126]
	v_mul_f64 v[111:112], v[95:96], s[6:7]
	v_mul_f64 v[113:114], v[93:94], s[6:7]
	v_add_f64 v[45:46], v[119:120], v[115:116]
	v_add_f64 v[57:58], v[121:122], v[117:118]
	v_fma_f64 v[59:60], v[65:66], s[34:35], v[239:240]
	v_fma_f64 v[107:108], v[67:68], s[34:35], -v[241:242]
	v_add_f64 v[35:36], v[49:50], v[35:36]
	v_add_f64 v[43:44], v[51:52], v[43:44]
	v_fma_f64 v[49:50], v[65:66], s[28:29], -v[99:100]
	v_fma_f64 v[51:52], v[67:68], s[28:29], v[97:98]
	v_mul_f64 v[95:96], v[95:96], s[46:47]
	v_mul_f64 v[93:94], v[93:94], s[46:47]
	v_add_f64 v[15:16], v[53:54], v[15:16]
	v_add_f64 v[53:54], v[61:62], v[101:102]
	v_fma_f64 v[61:62], v[65:66], s[28:29], v[99:100]
	v_fma_f64 v[97:98], v[67:68], s[28:29], -v[97:98]
	v_add_f64 v[17:18], v[37:38], v[17:18]
	v_add_f64 v[19:20], v[41:42], v[19:20]
	v_fma_f64 v[37:38], v[65:66], s[12:13], v[123:124]
	v_fma_f64 v[41:42], v[67:68], s[12:13], -v[125:126]
	v_mul_f64 v[185:186], v[91:92], s[6:7]
	v_mul_f64 v[199:200], v[89:90], s[6:7]
	v_add_f64 v[7:8], v[31:32], v[7:8]
	v_add_f64 v[29:30], v[33:34], v[29:30]
	v_fma_f64 v[31:32], v[85:86], s[18:19], -v[111:112]
	v_fma_f64 v[33:34], v[87:88], s[18:19], v[113:114]
	v_mul_f64 v[67:68], v[91:92], s[54:55]
	v_mul_f64 v[99:100], v[89:90], s[54:55]
	v_add_f64 v[45:46], v[59:60], v[45:46]
	v_add_f64 v[57:58], v[107:108], v[57:58]
	v_fma_f64 v[59:60], v[85:86], s[40:41], v[169:170]
	v_fma_f64 v[65:66], v[87:88], s[40:41], -v[171:172]
	v_add_f64 v[35:36], v[49:50], v[35:36]
	v_add_f64 v[43:44], v[51:52], v[43:44]
	v_fma_f64 v[49:50], v[85:86], s[22:23], -v[95:96]
	v_fma_f64 v[51:52], v[87:88], s[22:23], v[93:94]
	v_mul_f64 v[91:92], v[91:92], s[20:21]
	v_mul_f64 v[89:90], v[89:90], s[20:21]
	v_add_f64 v[15:16], v[61:62], v[15:16]
	v_add_f64 v[53:54], v[97:98], v[53:54]
	v_fma_f64 v[61:62], v[85:86], s[22:23], v[95:96]
	v_fma_f64 v[93:94], v[87:88], s[22:23], -v[93:94]
	v_add_f64 v[17:18], v[37:38], v[17:18]
	v_add_f64 v[19:20], v[41:42], v[19:20]
	v_fma_f64 v[37:38], v[85:86], s[18:19], v[111:112]
	v_fma_f64 v[41:42], v[87:88], s[18:19], -v[113:114]
	v_mul_f64 v[179:180], v[81:82], s[10:11]
	v_mul_f64 v[215:216], v[83:84], s[54:55]
	;; [unrolled: 1-line block ×7, first 2 shown]
	v_fma_f64 v[109:110], v[77:78], s[18:19], -v[185:186]
	v_fma_f64 v[187:188], v[79:80], s[18:19], v[199:200]
	v_add_f64 v[7:8], v[31:32], v[7:8]
	v_add_f64 v[29:30], v[33:34], v[29:30]
	v_fma_f64 v[31:32], v[77:78], s[40:41], -v[67:68]
	v_fma_f64 v[33:34], v[79:80], s[40:41], v[99:100]
	v_mul_f64 v[85:86], v[83:84], s[20:21]
	v_mul_f64 v[87:88], v[81:82], s[20:21]
	v_add_f64 v[45:46], v[59:60], v[45:46]
	v_add_f64 v[57:58], v[65:66], v[57:58]
	v_fma_f64 v[59:60], v[77:78], s[18:19], v[185:186]
	v_fma_f64 v[65:66], v[79:80], s[18:19], -v[199:200]
	v_add_f64 v[35:36], v[49:50], v[35:36]
	v_add_f64 v[43:44], v[51:52], v[43:44]
	v_fma_f64 v[49:50], v[77:78], s[38:39], -v[91:92]
	v_fma_f64 v[51:52], v[79:80], s[38:39], v[89:90]
	v_mul_f64 v[83:84], v[83:84], s[58:59]
	v_mul_f64 v[81:82], v[81:82], s[58:59]
	v_add_f64 v[15:16], v[61:62], v[15:16]
	v_add_f64 v[53:54], v[93:94], v[53:54]
	v_fma_f64 v[61:62], v[77:78], s[38:39], v[91:92]
	v_fma_f64 v[89:90], v[79:80], s[38:39], -v[89:90]
	v_add_f64 v[17:18], v[37:38], v[17:18]
	v_add_f64 v[19:20], v[41:42], v[19:20]
	v_fma_f64 v[37:38], v[77:78], s[40:41], v[67:68]
	v_fma_f64 v[41:42], v[79:80], s[40:41], -v[99:100]
	v_fma_f64 v[217:218], v[79:80], s[12:13], -v[217:218]
	v_fma_f64 v[223:224], v[79:80], s[28:29], -v[223:224]
	v_add_f64 v[143:144], v[173:174], v[143:144]
	v_fma_f64 v[231:232], v[70:71], s[24:25], v[179:180]
	v_fma_f64 v[175:176], v[75:76], s[40:41], -v[215:216]
	v_fma_f64 v[39:40], v[70:71], s[40:41], v[225:226]
	v_fma_f64 v[173:174], v[75:76], s[28:29], -v[189:190]
	v_fma_f64 v[103:104], v[70:71], s[28:29], v[191:192]
	v_add_f64 v[131:132], v[201:202], v[131:132]
	v_add_f64 v[47:48], v[109:110], v[47:48]
	;; [unrolled: 1-line block ×3, first 2 shown]
	v_fma_f64 v[77:78], v[75:76], s[22:23], -v[147:148]
	v_fma_f64 v[79:80], v[70:71], s[22:23], v[209:210]
	v_fma_f64 v[177:178], v[75:76], s[24:25], v[177:178]
	v_add_f64 v[7:8], v[31:32], v[7:8]
	v_add_f64 v[93:94], v[33:34], v[29:30]
	v_fma_f64 v[95:96], v[75:76], s[38:39], -v[85:86]
	v_fma_f64 v[97:98], v[70:71], s[38:39], v[87:88]
	v_add_f64 v[59:60], v[59:60], v[45:46]
	v_add_f64 v[57:58], v[65:66], v[57:58]
	v_fma_f64 v[65:66], v[75:76], s[22:23], v[147:148]
	v_fma_f64 v[91:92], v[70:71], s[22:23], -v[209:210]
	v_add_f64 v[35:36], v[49:50], v[35:36]
	v_add_f64 v[99:100], v[51:52], v[43:44]
	v_fma_f64 v[101:102], v[75:76], s[34:35], -v[83:84]
	v_fma_f64 v[107:108], v[70:71], s[34:35], v[81:82]
	v_add_f64 v[15:16], v[61:62], v[15:16]
	v_add_f64 v[89:90], v[89:90], v[53:54]
	v_fma_f64 v[61:62], v[75:76], s[34:35], v[83:84]
	v_fma_f64 v[81:82], v[70:71], s[34:35], -v[81:82]
	v_fma_f64 v[215:216], v[75:76], s[40:41], v[215:216]
	v_fma_f64 v[189:190], v[75:76], s[28:29], v[189:190]
	v_add_f64 v[83:84], v[37:38], v[17:18]
	v_add_f64 v[19:20], v[41:42], v[19:20]
	v_fma_f64 v[75:76], v[75:76], s[38:39], v[85:86]
	v_fma_f64 v[85:86], v[70:71], s[38:39], -v[87:88]
	v_fma_f64 v[191:192], v[70:71], s[28:29], -v[191:192]
	v_add_f64 v[153:154], v[217:218], v[153:154]
	v_fma_f64 v[179:180], v[70:71], s[24:25], -v[179:180]
	v_add_f64 v[87:88], v[223:224], v[151:152]
	;; [unrolled: 2-line block ×3, first 2 shown]
	v_add_f64 v[27:28], v[231:232], v[157:158]
	v_add_f64 v[29:30], v[175:176], v[63:64]
	;; [unrolled: 1-line block ×20, first 2 shown]
	v_lshlrev_b32_e32 v70, 4, v74
	v_add_f64 v[33:34], v[215:216], v[135:136]
	v_add_f64 v[35:36], v[71:72], v[87:88]
	;; [unrolled: 1-line block ×5, first 2 shown]
	v_add3_u32 v71, 0, v73, v70
	ds_write_b128 v71, v[21:24]
	ds_write_b128 v71, v[1:4] offset:112
	ds_write_b128 v71, v[9:12] offset:224
	;; [unrolled: 1-line block ×16, first 2 shown]
	s_waitcnt lgkmcnt(0)
	s_barrier
	buffer_gl0_inv
	s_and_saveexec_b32 s2, vcc_lo
	s_cbranch_execz .LBB0_16
; %bb.15:
	v_mul_hi_u32 v1, 0xf0f0f10, v0
	v_mul_lo_u32 v61, 0xffffffef, v69
	s_add_i32 s2, 0, 0x7e70
	v_mul_u32_u24_e32 v1, 17, v1
	v_sub_nc_u32_e32 v101, v0, v1
	v_mul_u32_u24_e32 v0, 0x70, v0
	v_add_nc_u32_e32 v1, 0x110, v101
	v_add3_u32 v0, 0, v0, v70
	v_mul_lo_u32 v2, v1, v69
	v_add_nc_u32_e32 v1, v2, v61
	v_lshrrev_b32_e32 v3, 1, v2
	v_and_b32_e32 v4, 31, v2
	v_lshrrev_b32_e32 v2, 6, v2
	v_lshrrev_b32_e32 v5, 1, v1
	v_and_b32_e32 v3, 0x1f0, v3
	v_and_b32_e32 v6, 31, v1
	v_add_nc_u32_e32 v7, v1, v61
	v_and_b32_e32 v2, 0x1f0, v2
	v_and_b32_e32 v5, 0x1f0, v5
	v_lshl_add_u32 v4, v4, 4, 0
	v_lshrrev_b32_e32 v1, 6, v1
	v_add_nc_u32_e32 v8, s2, v3
	v_lshl_add_u32 v6, v6, 4, 0
	v_lshrrev_b32_e32 v3, 1, v7
	v_add_nc_u32_e32 v2, s2, v2
	v_add_nc_u32_e32 v5, s2, v5
	v_and_b32_e32 v11, 0x1f0, v1
	v_add_nc_u32_e32 v9, v7, v61
	v_and_b32_e32 v13, 0x1f0, v3
	ds_read_b128 v[29:32], v4 offset:32368
	ds_read_b128 v[1:4], v2 offset:1024
	;; [unrolled: 1-line block ×4, first 2 shown]
	v_and_b32_e32 v10, 31, v7
	v_lshrrev_b32_e32 v7, 6, v7
	v_add_nc_u32_e32 v15, v9, v61
	v_lshrrev_b32_e32 v12, 1, v9
	v_add_nc_u32_e32 v11, s2, v11
	v_and_b32_e32 v14, 31, v9
	v_and_b32_e32 v16, 0x1f0, v7
	v_lshrrev_b32_e32 v9, 6, v9
	v_add_nc_u32_e32 v13, s2, v13
	v_lshrrev_b32_e32 v17, 1, v15
	v_add_nc_u32_e32 v18, v15, v61
	ds_read_b128 v[62:65], v8 offset:512
	ds_read_b128 v[5:8], v11 offset:1024
	v_and_b32_e32 v12, 0x1f0, v12
	v_lshl_add_u32 v10, v10, 4, 0
	v_and_b32_e32 v19, 31, v15
	v_add_nc_u32_e32 v11, s2, v16
	v_and_b32_e32 v16, 0x1f0, v9
	ds_read_b128 v[75:78], v13 offset:512
	v_lshrrev_b32_e32 v13, 1, v18
	v_and_b32_e32 v17, 0x1f0, v17
	v_lshl_add_u32 v14, v14, 4, 0
	v_add_nc_u32_e32 v20, s2, v12
	s_waitcnt lgkmcnt(3)
	v_mul_f64 v[66:67], v[39:40], v[55:56]
	v_mul_f64 v[55:56], v[37:38], v[55:56]
	v_and_b32_e32 v21, 31, v18
	v_lshl_add_u32 v19, v19, 4, 0
	v_add_nc_u32_e32 v22, v18, v61
	ds_read_b128 v[79:82], v10 offset:32368
	ds_read_b128 v[9:12], v11 offset:1024
	;; [unrolled: 1-line block ×4, first 2 shown]
	v_lshrrev_b32_e32 v15, 6, v15
	v_add_nc_u32_e32 v14, s2, v16
	v_and_b32_e32 v23, 0x1f0, v13
	v_add_nc_u32_e32 v17, s2, v17
	v_lshl_add_u32 v21, v21, 4, 0
	ds_read_b128 v[25:28], v19 offset:32368
	v_lshrrev_b32_e32 v19, 1, v22
	v_and_b32_e32 v20, 0x1f0, v15
	v_lshrrev_b32_e32 v18, 6, v18
	ds_read_b128 v[13:16], v14 offset:1024
	ds_read_b128 v[33:36], v17 offset:512
	v_add_nc_u32_e32 v17, s2, v23
	v_and_b32_e32 v24, 31, v22
	ds_read_b128 v[41:44], v21 offset:32368
	ds_read_b128 v[45:48], v17 offset:512
	v_and_b32_e32 v17, 0x1f0, v19
	s_waitcnt lgkmcnt(11)
	v_mul_f64 v[59:60], v[31:32], v[64:65]
	v_and_b32_e32 v18, 0x1f0, v18
	v_add_nc_u32_e32 v20, s2, v20
	v_lshl_add_u32 v19, v24, 4, 0
	v_add_nc_u32_e32 v23, s2, v17
	v_mul_f64 v[64:65], v[29:30], v[64:65]
	v_add_nc_u32_e32 v18, s2, v18
	s_waitcnt lgkmcnt(5)
	v_mul_f64 v[97:98], v[95:96], v[85:86]
	v_mul_f64 v[99:100], v[93:94], v[85:86]
	ds_read_b128 v[189:192], v20 offset:1024
	ds_read_b128 v[49:52], v19 offset:32368
	;; [unrolled: 1-line block ×3, first 2 shown]
	v_fma_f64 v[87:88], v[37:38], v[53:54], -v[66:67]
	v_fma_f64 v[85:86], v[39:40], v[53:54], v[55:56]
	ds_read_b128 v[53:56], v23 offset:512
	v_mul_f64 v[71:72], v[81:82], v[77:78]
	v_mul_f64 v[77:78], v[79:80], v[77:78]
	v_add_nc_u32_e32 v68, v22, v61
	v_lshrrev_b32_e32 v22, 6, v22
	s_waitcnt lgkmcnt(6)
	v_mul_f64 v[57:58], v[27:28], v[35:36]
	v_mul_f64 v[35:36], v[25:26], v[35:36]
	v_lshrrev_b32_e32 v21, 1, v68
	v_fma_f64 v[91:92], v[29:30], v[62:63], -v[59:60]
	v_and_b32_e32 v23, 31, v68
	v_lshrrev_b32_e32 v24, 6, v68
	v_add_nc_u32_e32 v29, v68, v61
	v_and_b32_e32 v21, 0x1f0, v21
	v_fma_f64 v[89:90], v[31:32], v[62:63], v[64:65]
	v_lshl_add_u32 v23, v23, 4, 0
	v_and_b32_e32 v22, 0x1f0, v22
	v_and_b32_e32 v24, 0x1f0, v24
	v_add_nc_u32_e32 v32, v29, v61
	v_add_nc_u32_e32 v21, s2, v21
	s_waitcnt lgkmcnt(0)
	v_mul_f64 v[66:67], v[51:52], v[55:56]
	v_add_nc_u32_e32 v22, s2, v22
	v_mul_f64 v[59:60], v[43:44], v[47:48]
	v_fma_f64 v[79:80], v[79:80], v[75:76], -v[71:72]
	v_fma_f64 v[81:82], v[81:82], v[75:76], v[77:78]
	v_fma_f64 v[75:76], v[93:94], v[83:84], -v[97:98]
	v_fma_f64 v[77:78], v[95:96], v[83:84], v[99:100]
	ds_read_b128 v[62:65], v23 offset:32368
	ds_read_b128 v[93:96], v21 offset:512
	v_add_nc_u32_e32 v23, s2, v24
	v_and_b32_e32 v24, 31, v29
	v_lshrrev_b32_e32 v30, 1, v32
	v_lshrrev_b32_e32 v21, 1, v29
	;; [unrolled: 1-line block ×3, first 2 shown]
	ds_read_b128 v[235:238], v22 offset:1024
	ds_read_b128 v[97:100], v23 offset:1024
	v_lshl_add_u32 v22, v24, 4, 0
	v_and_b32_e32 v23, 31, v32
	v_and_b32_e32 v24, 0x1f0, v30
	v_lshrrev_b32_e32 v30, 6, v32
	v_and_b32_e32 v21, 0x1f0, v21
	v_and_b32_e32 v29, 0x1f0, v29
	v_lshl_add_u32 v23, v23, 4, 0
	v_add_nc_u32_e32 v24, s2, v24
	v_and_b32_e32 v30, 0x1f0, v30
	v_add_nc_u32_e32 v21, s2, v21
	v_add_nc_u32_e32 v29, s2, v29
	v_mul_f64 v[71:72], v[49:50], v[55:56]
	ds_read_b128 v[105:108], v22 offset:32368
	ds_read_b128 v[109:112], v21 offset:512
	v_fma_f64 v[21:22], v[25:26], v[33:34], -v[57:58]
	ds_read_b128 v[55:58], v23 offset:32368
	ds_read_b128 v[113:116], v24 offset:512
	v_fma_f64 v[23:24], v[27:28], v[33:34], v[35:36]
	v_add_nc_u32_e32 v33, s2, v30
	buffer_store_dword v74, off, s[60:63], 0 ; 4-byte Folded Spill
	ds_read_b128 v[183:186], v29 offset:1024
	ds_read_b128 v[231:234], v33 offset:1024
	v_fma_f64 v[33:34], v[49:50], v[53:54], -v[66:67]
	s_waitcnt lgkmcnt(8)
	v_mul_f64 v[25:26], v[64:65], v[95:96]
	buffer_store_dword v33, off, s[60:63], 0 offset:232 ; 4-byte Folded Spill
	buffer_store_dword v34, off, s[60:63], 0 offset:236 ; 4-byte Folded Spill
	v_fma_f64 v[33:34], v[51:52], v[53:54], v[71:72]
	v_fma_f64 v[25:26], v[62:63], v[93:94], -v[25:26]
	v_mul_f64 v[27:28], v[62:63], v[95:96]
	v_mul_f64 v[47:48], v[41:42], v[47:48]
	v_fma_f64 v[30:31], v[41:42], v[45:46], -v[59:60]
	s_waitcnt lgkmcnt(4)
	v_mul_f64 v[41:42], v[107:108], v[111:112]
	buffer_store_dword v33, off, s[60:63], 0 offset:240 ; 4-byte Folded Spill
	buffer_store_dword v34, off, s[60:63], 0 offset:244 ; 4-byte Folded Spill
	;; [unrolled: 1-line block ×4, first 2 shown]
	v_fma_f64 v[25:26], v[64:65], v[93:94], v[27:28]
	v_fma_f64 v[73:74], v[43:44], v[45:46], v[47:48]
	v_mul_f64 v[43:44], v[105:106], v[111:112]
	v_fma_f64 v[36:37], v[105:106], v[109:110], -v[41:42]
	v_add_nc_u32_e32 v32, v32, v61
	buffer_store_dword v25, off, s[60:63], 0 offset:224 ; 4-byte Folded Spill
	buffer_store_dword v26, off, s[60:63], 0 offset:228 ; 4-byte Folded Spill
	v_lshrrev_b32_e32 v29, 1, v32
	v_and_b32_e32 v33, 31, v32
	s_waitcnt lgkmcnt(2)
	v_mul_f64 v[49:50], v[57:58], v[115:116]
	v_add_nc_u32_e32 v34, v32, v61
	v_lshrrev_b32_e32 v32, 6, v32
	v_and_b32_e32 v29, 0x1f0, v29
	v_lshl_add_u32 v33, v33, 4, 0
	v_mul_f64 v[51:52], v[55:56], v[115:116]
	v_lshrrev_b32_e32 v35, 1, v34
	v_and_b32_e32 v32, 0x1f0, v32
	v_add_nc_u32_e32 v29, s2, v29
	ds_read_b128 v[25:28], v33 offset:32368
	ds_read_b128 v[62:65], v29 offset:512
	buffer_store_dword v36, off, s[60:63], 0 offset:168 ; 4-byte Folded Spill
	buffer_store_dword v37, off, s[60:63], 0 offset:172 ; 4-byte Folded Spill
	v_fma_f64 v[36:37], v[107:108], v[109:110], v[43:44]
	v_and_b32_e32 v29, 31, v34
	v_and_b32_e32 v33, 0x1f0, v35
	v_lshrrev_b32_e32 v35, 6, v34
	buffer_store_dword v36, off, s[60:63], 0 offset:176 ; 4-byte Folded Spill
	buffer_store_dword v37, off, s[60:63], 0 offset:180 ; 4-byte Folded Spill
	v_lshl_add_u32 v29, v29, 4, 0
	v_and_b32_e32 v35, 0x1f0, v35
	v_add_nc_u32_e32 v33, s2, v33
	ds_read_b128 v[93:96], v29 offset:32368
	ds_read_b128 v[105:108], v33 offset:512
	v_add_nc_u32_e32 v29, s2, v32
	v_add_nc_u32_e32 v32, s2, v35
	v_fma_f64 v[35:36], v[55:56], v[113:114], -v[49:50]
	s_waitcnt lgkmcnt(2)
	v_mul_f64 v[53:54], v[27:28], v[64:65]
	buffer_store_dword v35, off, s[60:63], 0 offset:96 ; 4-byte Folded Spill
	buffer_store_dword v36, off, s[60:63], 0 offset:100 ; 4-byte Folded Spill
	v_fma_f64 v[35:36], v[57:58], v[113:114], v[51:52]
	v_mul_f64 v[55:56], v[25:26], v[64:65]
	v_fma_f64 v[25:26], v[25:26], v[62:63], -v[53:54]
	buffer_store_dword v35, off, s[60:63], 0 offset:104 ; 4-byte Folded Spill
	buffer_store_dword v36, off, s[60:63], 0 offset:108 ; 4-byte Folded Spill
	ds_read_b128 v[179:182], v29 offset:1024
	ds_read_b128 v[203:206], v32 offset:1024
	buffer_store_dword v25, off, s[60:63], 0 offset:112 ; 4-byte Folded Spill
	buffer_store_dword v26, off, s[60:63], 0 offset:116 ; 4-byte Folded Spill
	v_fma_f64 v[26:27], v[27:28], v[62:63], v[55:56]
	s_waitcnt lgkmcnt(2)
	v_mul_f64 v[57:58], v[95:96], v[107:108]
	v_add_nc_u32_e32 v29, v34, v61
	buffer_store_dword v26, off, s[60:63], 0 offset:120 ; 4-byte Folded Spill
	buffer_store_dword v27, off, s[60:63], 0 offset:124 ; 4-byte Folded Spill
	v_lshrrev_b32_e32 v32, 1, v29
	v_and_b32_e32 v26, 31, v29
	v_fma_f64 v[34:35], v[93:94], v[105:106], -v[57:58]
	v_mul_f64 v[59:60], v[93:94], v[107:108]
	v_add_nc_u32_e32 v33, v29, v61
	v_and_b32_e32 v25, 0x1f0, v32
	v_lshl_add_u32 v32, v26, 4, 0
	v_lshrrev_b32_e32 v29, 6, v29
	v_add_nc_u32_e32 v25, s2, v25
	ds_read_b128 v[62:65], v32 offset:32368
	v_lshrrev_b32_e32 v32, 6, v33
	v_and_b32_e32 v29, 0x1f0, v29
	ds_read_b128 v[25:28], v25 offset:512
	buffer_store_dword v34, off, s[60:63], 0 offset:128 ; 4-byte Folded Spill
	buffer_store_dword v35, off, s[60:63], 0 offset:132 ; 4-byte Folded Spill
	v_fma_f64 v[34:35], v[95:96], v[105:106], v[59:60]
	buffer_store_dword v34, off, s[60:63], 0 offset:136 ; 4-byte Folded Spill
	buffer_store_dword v35, off, s[60:63], 0 offset:140 ; 4-byte Folded Spill
	s_waitcnt lgkmcnt(0)
	v_mul_f64 v[66:67], v[64:65], v[27:28]
	v_mul_f64 v[27:28], v[62:63], v[27:28]
	v_and_b32_e32 v32, 0x1f0, v32
	v_add_nc_u32_e32 v29, s2, v29
	v_add_nc_u32_e32 v32, s2, v32
	ds_read_b128 v[171:174], v29 offset:1024
	ds_read_b128 v[175:178], v32 offset:1024
	v_fma_f64 v[34:35], v[62:63], v[25:26], -v[66:67]
	v_fma_f64 v[25:26], v[64:65], v[25:26], v[27:28]
	buffer_store_dword v34, off, s[60:63], 0 offset:184 ; 4-byte Folded Spill
	buffer_store_dword v35, off, s[60:63], 0 offset:188 ; 4-byte Folded Spill
	;; [unrolled: 1-line block ×4, first 2 shown]
	v_lshrrev_b32_e32 v25, 1, v33
	v_and_b32_e32 v26, 31, v33
	v_and_b32_e32 v25, 0x1f0, v25
	v_lshl_add_u32 v26, v26, 4, 0
	v_add_nc_u32_e32 v29, s2, v25
	ds_read_b128 v[25:28], v26 offset:32368
	ds_read_b128 v[62:65], v29 offset:512
	s_waitcnt lgkmcnt(0)
	v_mul_f64 v[66:67], v[27:28], v[64:65]
	v_fma_f64 v[34:35], v[25:26], v[62:63], -v[66:67]
	v_mul_f64 v[25:26], v[25:26], v[64:65]
	buffer_store_dword v34, off, s[60:63], 0 offset:200 ; 4-byte Folded Spill
	buffer_store_dword v35, off, s[60:63], 0 offset:204 ; 4-byte Folded Spill
	v_fma_f64 v[25:26], v[27:28], v[62:63], v[25:26]
	buffer_store_dword v25, off, s[60:63], 0 offset:208 ; 4-byte Folded Spill
	buffer_store_dword v26, off, s[60:63], 0 offset:212 ; 4-byte Folded Spill
	v_add_nc_u32_e32 v25, v33, v61
	v_add_nc_u32_e32 v27, v25, v61
	v_lshrrev_b32_e32 v26, 1, v25
	v_lshrrev_b32_e32 v28, 6, v25
	v_and_b32_e32 v25, 31, v25
	v_lshrrev_b32_e32 v29, 6, v27
	v_and_b32_e32 v26, 0x1f0, v26
	v_and_b32_e32 v28, 0x1f0, v28
	v_lshl_add_u32 v25, v25, 4, 0
	v_and_b32_e32 v29, 0x1f0, v29
	v_add_nc_u32_e32 v26, s2, v26
	v_add_nc_u32_e32 v28, s2, v28
	;; [unrolled: 1-line block ×3, first 2 shown]
	ds_read_b128 v[65:68], v26 offset:512
	ds_read_b128 v[93:96], v25 offset:32368
	;; [unrolled: 1-line block ×4, first 2 shown]
	s_waitcnt lgkmcnt(2)
	v_mul_f64 v[71:72], v[95:96], v[67:68]
	v_mul_f64 v[67:68], v[93:94], v[67:68]
	v_fma_f64 v[25:26], v[93:94], v[65:66], -v[71:72]
	buffer_store_dword v25, off, s[60:63], 0 offset:688 ; 4-byte Folded Spill
	buffer_store_dword v26, off, s[60:63], 0 offset:692 ; 4-byte Folded Spill
	v_fma_f64 v[25:26], v[95:96], v[65:66], v[67:68]
	buffer_store_dword v25, off, s[60:63], 0 offset:696 ; 4-byte Folded Spill
	buffer_store_dword v26, off, s[60:63], 0 offset:700 ; 4-byte Folded Spill
	;; [unrolled: 1-line block ×3, first 2 shown]
	v_mul_lo_u32 v25, v101, v69
	v_lshrrev_b32_e32 v26, 1, v25
	v_lshrrev_b32_e32 v28, 6, v25
	v_and_b32_e32 v25, 31, v25
	v_and_b32_e32 v26, 0x1f0, v26
	;; [unrolled: 1-line block ×3, first 2 shown]
	v_lshl_add_u32 v25, v25, 4, 0
	v_add_nc_u32_e32 v26, s2, v26
	v_add_nc_u32_e32 v28, s2, v28
	ds_read_b128 v[93:96], v26 offset:512
	ds_read_b128 v[109:112], v25 offset:32368
	;; [unrolled: 1-line block ×3, first 2 shown]
	s_waitcnt lgkmcnt(1)
	v_mul_f64 v[71:72], v[111:112], v[95:96]
	v_fma_f64 v[25:26], v[109:110], v[93:94], -v[71:72]
	v_mul_f64 v[71:72], v[109:110], v[95:96]
	buffer_store_dword v25, off, s[60:63], 0 offset:728 ; 4-byte Folded Spill
	buffer_store_dword v26, off, s[60:63], 0 offset:732 ; 4-byte Folded Spill
	v_fma_f64 v[25:26], v[111:112], v[93:94], v[71:72]
	buffer_store_dword v25, off, s[60:63], 0 offset:736 ; 4-byte Folded Spill
	buffer_store_dword v26, off, s[60:63], 0 offset:740 ; 4-byte Folded Spill
	v_lshrrev_b32_e32 v25, 1, v27
	v_and_b32_e32 v26, 31, v27
	v_and_b32_e32 v25, 0x1f0, v25
	v_lshl_add_u32 v26, v26, 4, 0
	v_add_nc_u32_e32 v25, s2, v25
	ds_read_b128 v[109:112], v26 offset:32368
	ds_read_b128 v[113:116], v25 offset:512
	s_waitcnt lgkmcnt(0)
	v_mul_f64 v[71:72], v[111:112], v[115:116]
	v_fma_f64 v[25:26], v[109:110], v[113:114], -v[71:72]
	v_mul_f64 v[71:72], v[109:110], v[115:116]
	buffer_store_dword v25, off, s[60:63], 0 offset:144 ; 4-byte Folded Spill
	buffer_store_dword v26, off, s[60:63], 0 offset:148 ; 4-byte Folded Spill
	v_fma_f64 v[25:26], v[111:112], v[113:114], v[71:72]
	buffer_store_dword v25, off, s[60:63], 0 offset:72 ; 4-byte Folded Spill
	buffer_store_dword v26, off, s[60:63], 0 offset:76 ; 4-byte Folded Spill
	v_lshlrev_b32_e32 v25, 8, v101
	v_mov_b32_e32 v101, v251
	v_mov_b32_e32 v102, v252
	global_load_dwordx4 v[69:72], v25, s[16:17] offset:112
	ds_read_b128 v[109:112], v0 offset:15232
	ds_read_b128 v[113:116], v0 offset:17136
	global_load_dwordx4 v[117:120], v25, s[16:17] offset:96
	s_waitcnt vmcnt(1) lgkmcnt(1)
	v_mul_f64 v[83:84], v[109:110], v[71:72]
	v_mul_f64 v[71:72], v[111:112], v[71:72]
	v_fma_f64 v[38:39], v[111:112], v[69:70], v[83:84]
	v_fma_f64 v[44:45], v[109:110], v[69:70], -v[71:72]
	s_clause 0x1
	global_load_dwordx4 v[69:72], v25, s[16:17] offset:128
	global_load_dwordx4 v[109:112], v25, s[16:17] offset:144
	s_waitcnt vmcnt(1) lgkmcnt(0)
	v_mul_f64 v[83:84], v[113:114], v[71:72]
	v_mul_f64 v[71:72], v[115:116], v[71:72]
	v_fma_f64 v[42:43], v[115:116], v[69:70], v[83:84]
	v_fma_f64 v[46:47], v[113:114], v[69:70], -v[71:72]
	ds_read_b128 v[69:72], v0 offset:13328
	ds_read_b128 v[113:116], v0 offset:11424
	s_waitcnt lgkmcnt(1)
	v_mul_f64 v[83:84], v[69:70], v[119:120]
	v_fma_f64 v[52:53], v[71:72], v[117:118], v[83:84]
	v_mul_f64 v[71:72], v[71:72], v[119:120]
	v_fma_f64 v[56:57], v[69:70], v[117:118], -v[71:72]
	ds_read_b128 v[69:72], v0 offset:19040
	ds_read_b128 v[117:120], v0 offset:20944
	s_waitcnt vmcnt(0) lgkmcnt(1)
	v_mul_f64 v[83:84], v[69:70], v[111:112]
	v_fma_f64 v[48:49], v[71:72], v[109:110], v[83:84]
	v_mul_f64 v[71:72], v[71:72], v[111:112]
	v_fma_f64 v[50:51], v[69:70], v[109:110], -v[71:72]
	s_clause 0x1
	global_load_dwordx4 v[69:72], v25, s[16:17] offset:80
	global_load_dwordx4 v[109:112], v25, s[16:17] offset:64
	s_waitcnt vmcnt(1)
	v_mul_f64 v[83:84], v[113:114], v[71:72]
	v_mul_f64 v[71:72], v[115:116], v[71:72]
	v_fma_f64 v[121:122], v[115:116], v[69:70], v[83:84]
	v_fma_f64 v[123:124], v[113:114], v[69:70], -v[71:72]
	s_clause 0x1
	global_load_dwordx4 v[69:72], v25, s[16:17] offset:160
	global_load_dwordx4 v[113:116], v25, s[16:17] offset:176
	s_waitcnt vmcnt(1) lgkmcnt(0)
	v_mul_f64 v[83:84], v[117:118], v[71:72]
	v_mul_f64 v[71:72], v[119:120], v[71:72]
	v_fma_f64 v[54:55], v[119:120], v[69:70], v[83:84]
	v_fma_f64 v[58:59], v[117:118], v[69:70], -v[71:72]
	ds_read_b128 v[69:72], v0 offset:9520
	ds_read_b128 v[117:120], v0 offset:7616
	s_waitcnt lgkmcnt(1)
	v_mul_f64 v[83:84], v[69:70], v[111:112]
	v_fma_f64 v[125:126], v[71:72], v[109:110], v[83:84]
	v_mul_f64 v[71:72], v[71:72], v[111:112]
	v_fma_f64 v[127:128], v[69:70], v[109:110], -v[71:72]
	ds_read_b128 v[69:72], v0 offset:22848
	ds_read_b128 v[109:112], v0 offset:24752
	s_waitcnt vmcnt(0) lgkmcnt(1)
	v_mul_f64 v[83:84], v[69:70], v[115:116]
	v_fma_f64 v[28:29], v[71:72], v[113:114], v[83:84]
	v_mul_f64 v[71:72], v[71:72], v[115:116]
	v_fma_f64 v[103:104], v[69:70], v[113:114], -v[71:72]
	s_clause 0x1
	global_load_dwordx4 v[69:72], v25, s[16:17] offset:48
	global_load_dwordx4 v[113:116], v25, s[16:17] offset:32
	s_waitcnt vmcnt(1)
	v_mul_f64 v[83:84], v[117:118], v[71:72]
	v_mul_f64 v[71:72], v[119:120], v[71:72]
	v_fma_f64 v[129:130], v[119:120], v[69:70], v[83:84]
	v_fma_f64 v[131:132], v[117:118], v[69:70], -v[71:72]
	s_clause 0x1
	global_load_dwordx4 v[69:72], v25, s[16:17] offset:192
	global_load_dwordx4 v[117:120], v25, s[16:17] offset:208
	s_waitcnt vmcnt(1) lgkmcnt(0)
	v_mul_f64 v[83:84], v[109:110], v[71:72]
	v_mul_f64 v[71:72], v[111:112], v[71:72]
	v_fma_f64 v[32:33], v[111:112], v[69:70], v[83:84]
	v_fma_f64 v[107:108], v[109:110], v[69:70], -v[71:72]
	ds_read_b128 v[69:72], v0 offset:5712
	ds_read_b128 v[109:112], v0 offset:3808
	s_waitcnt lgkmcnt(1)
	v_mul_f64 v[83:84], v[69:70], v[115:116]
	v_fma_f64 v[133:134], v[71:72], v[113:114], v[83:84]
	v_mul_f64 v[71:72], v[71:72], v[115:116]
	v_fma_f64 v[135:136], v[69:70], v[113:114], -v[71:72]
	s_clause 0x1
	global_load_dwordx4 v[69:72], v25, s[16:17] offset:16
	global_load_dwordx4 v[113:116], v25, s[16:17]
	s_waitcnt vmcnt(1) lgkmcnt(0)
	v_mul_f64 v[83:84], v[109:110], v[71:72]
	v_mul_f64 v[71:72], v[111:112], v[71:72]
	v_fma_f64 v[141:142], v[111:112], v[69:70], v[83:84]
	v_fma_f64 v[143:144], v[109:110], v[69:70], -v[71:72]
	ds_read_b128 v[109:112], v0 offset:1904
	ds_read_b128 v[69:72], v0
	s_waitcnt vmcnt(0) lgkmcnt(1)
	v_mul_f64 v[83:84], v[109:110], v[115:116]
	v_mul_f64 v[93:94], v[111:112], v[115:116]
	v_fma_f64 v[201:202], v[111:112], v[113:114], v[83:84]
	v_fma_f64 v[193:194], v[109:110], v[113:114], -v[93:94]
	s_clause 0x1
	global_load_dwordx4 v[109:112], v25, s[16:17] offset:240
	global_load_dwordx4 v[113:116], v25, s[16:17] offset:224
	ds_read_b128 v[137:140], v0 offset:30464
	s_waitcnt vmcnt(1) lgkmcnt(0)
	v_mul_f64 v[93:94], v[137:138], v[111:112]
	v_fma_f64 v[25:26], v[139:140], v[109:110], v[93:94]
	v_mul_f64 v[93:94], v[139:140], v[111:112]
	v_fma_f64 v[34:35], v[137:138], v[109:110], -v[93:94]
	ds_read_b128 v[109:112], v0 offset:28560
	ds_read_b128 v[137:140], v0 offset:26656
	buffer_store_dword v25, off, s[60:63], 0 offset:248 ; 4-byte Folded Spill
	buffer_store_dword v26, off, s[60:63], 0 offset:252 ; 4-byte Folded Spill
	;; [unrolled: 1-line block ×4, first 2 shown]
	s_waitcnt vmcnt(0) lgkmcnt(1)
	v_mul_f64 v[93:94], v[109:110], v[115:116]
	v_fma_f64 v[36:37], v[111:112], v[113:114], v[93:94]
	v_mul_f64 v[93:94], v[111:112], v[115:116]
	v_fma_f64 v[40:41], v[109:110], v[113:114], -v[93:94]
	s_waitcnt lgkmcnt(0)
	v_mul_f64 v[93:94], v[137:138], v[119:120]
	v_fma_f64 v[113:114], v[139:140], v[117:118], v[93:94]
	v_mul_f64 v[93:94], v[139:140], v[119:120]
	v_fma_f64 v[115:116], v[137:138], v[117:118], -v[93:94]
	v_mul_f64 v[93:94], v[89:90], v[3:4]
	v_mul_f64 v[3:4], v[91:92], v[3:4]
	v_fma_f64 v[93:94], v[1:2], v[91:92], -v[93:94]
	v_fma_f64 v[2:3], v[1:2], v[89:90], v[3:4]
	v_mul_f64 v[0:1], v[85:86], v[7:8]
	v_fma_f64 v[91:92], v[5:6], v[87:88], -v[0:1]
	v_mul_f64 v[0:1], v[87:88], v[7:8]
	v_fma_f64 v[87:88], v[5:6], v[85:86], v[0:1]
	v_mul_f64 v[0:1], v[81:82], v[11:12]
	v_mov_b32_e32 v4, v40
	v_mov_b32_e32 v5, v41
	v_fma_f64 v[109:110], v[9:10], v[79:80], -v[0:1]
	v_mul_f64 v[0:1], v[79:80], v[11:12]
	v_fma_f64 v[111:112], v[9:10], v[81:82], v[0:1]
	v_mul_f64 v[0:1], v[77:78], v[15:16]
	v_fma_f64 v[137:138], v[13:14], v[75:76], -v[0:1]
	v_mul_f64 v[0:1], v[75:76], v[15:16]
	v_fma_f64 v[139:140], v[13:14], v[77:78], v[0:1]
	v_mul_f64 v[0:1], v[23:24], v[191:192]
	v_fma_f64 v[83:84], v[189:190], v[21:22], -v[0:1]
	v_mul_f64 v[0:1], v[21:22], v[191:192]
	v_add_f64 v[253:254], v[201:202], -v[25:26]
	v_fma_f64 v[77:78], v[189:190], v[23:24], v[0:1]
	v_mul_f64 v[0:1], v[73:74], v[19:20]
	v_add_f64 v[14:15], v[193:194], -v[34:35]
	v_add_f64 v[40:41], v[193:194], v[34:35]
	v_mul_f64 v[167:168], v[253:254], s[30:31]
	v_fma_f64 v[105:106], v[17:18], v[30:31], -v[0:1]
	v_mul_f64 v[0:1], v[30:31], v[19:20]
	v_fma_f64 v[95:96], v[17:18], v[73:74], v[0:1]
	v_add_f64 v[73:74], v[201:202], v[25:26]
	v_mul_f64 v[0:1], v[73:74], s[12:13]
	buffer_store_dword v0, off, s[60:63], 0 offset:760 ; 4-byte Folded Spill
	buffer_store_dword v1, off, s[60:63], 0 offset:764 ; 4-byte Folded Spill
	;; [unrolled: 1-line block ×10, first 2 shown]
	v_mul_f64 v[165:166], v[73:74], s[40:41]
	v_fma_f64 v[0:1], v[14:15], s[44:45], v[0:1]
	v_add_f64 v[251:252], v[141:142], v[36:37]
	v_add_f64 v[75:76], v[143:144], -v[4:5]
	v_add_f64 v[36:37], v[141:142], -v[36:37]
	v_add_f64 v[195:196], v[143:144], v[4:5]
	v_add_f64 v[0:1], v[71:72], v[0:1]
	v_mul_f64 v[10:11], v[251:252], s[40:41]
	buffer_store_dword v10, off, s[60:63], 0 offset:296 ; 4-byte Folded Spill
	buffer_store_dword v11, off, s[60:63], 0 offset:300 ; 4-byte Folded Spill
	v_mul_f64 v[163:164], v[251:252], s[24:25]
	v_mul_f64 v[187:188], v[36:37], s[50:51]
	v_fma_f64 v[16:17], v[75:76], s[54:55], v[10:11]
	v_add_f64 v[16:17], v[16:17], v[0:1]
	v_mul_f64 v[0:1], v[253:254], s[42:43]
	buffer_store_dword v0, off, s[60:63], 0 offset:784 ; 4-byte Folded Spill
	buffer_store_dword v1, off, s[60:63], 0 offset:788 ; 4-byte Folded Spill
	v_fma_f64 v[18:19], v[40:41], s[12:13], v[0:1]
	v_mul_f64 v[0:1], v[36:37], s[36:37]
	buffer_store_dword v0, off, s[60:63], 0 offset:360 ; 4-byte Folded Spill
	buffer_store_dword v1, off, s[60:63], 0 offset:364 ; 4-byte Folded Spill
	;; [unrolled: 1-line block ×10, first 2 shown]
	v_add_f64 v[18:19], v[69:70], v[18:19]
	v_fma_f64 v[20:21], v[195:196], s[40:41], v[0:1]
	v_add_f64 v[26:27], v[133:134], v[113:114]
	v_add_f64 v[79:80], v[135:136], -v[115:116]
	v_add_f64 v[34:35], v[133:134], -v[113:114]
	v_add_f64 v[207:208], v[135:136], v[115:116]
	v_mul_f64 v[133:134], v[253:254], s[26:27]
	v_add_f64 v[18:19], v[20:21], v[18:19]
	v_mul_f64 v[0:1], v[26:27], s[22:23]
	buffer_store_dword v0, off, s[60:63], 0 offset:304 ; 4-byte Folded Spill
	buffer_store_dword v1, off, s[60:63], 0 offset:308 ; 4-byte Folded Spill
	v_mul_f64 v[157:158], v[26:27], s[40:41]
	v_mul_f64 v[169:170], v[34:35], s[54:55]
	;; [unrolled: 1-line block ×4, first 2 shown]
	v_fma_f64 v[20:21], v[79:80], s[46:47], v[0:1]
	v_mul_f64 v[0:1], v[34:35], s[30:31]
	buffer_store_dword v0, off, s[60:63], 0 offset:384 ; 4-byte Folded Spill
	buffer_store_dword v1, off, s[60:63], 0 offset:388 ; 4-byte Folded Spill
	buffer_store_dword v32, off, s[60:63], 0 offset:336 ; 4-byte Folded Spill
	buffer_store_dword v33, off, s[60:63], 0 offset:340 ; 4-byte Folded Spill
	buffer_store_dword v129, off, s[60:63], 0 offset:488 ; 4-byte Folded Spill
	buffer_store_dword v130, off, s[60:63], 0 offset:492 ; 4-byte Folded Spill
	v_add_f64 v[16:17], v[20:21], v[16:17]
	buffer_store_dword v107, off, s[60:63], 0 offset:352 ; 4-byte Folded Spill
	buffer_store_dword v108, off, s[60:63], 0 offset:356 ; 4-byte Folded Spill
	;; [unrolled: 1-line block ×4, first 2 shown]
	v_fma_f64 v[20:21], v[207:208], s[22:23], v[0:1]
	v_add_f64 v[22:23], v[129:130], v[32:33]
	v_add_f64 v[32:33], v[129:130], -v[32:33]
	v_add_f64 v[81:82], v[131:132], -v[107:108]
	v_add_f64 v[209:210], v[131:132], v[107:108]
	v_mul_f64 v[131:132], v[73:74], s[22:23]
	v_add_f64 v[18:19], v[20:21], v[18:19]
	v_mul_f64 v[10:11], v[22:23], s[34:35]
	v_mul_f64 v[0:1], v[32:33], s[26:27]
	buffer_store_dword v10, off, s[60:63], 0 offset:312 ; 4-byte Folded Spill
	buffer_store_dword v11, off, s[60:63], 0 offset:316 ; 4-byte Folded Spill
	;; [unrolled: 1-line block ×12, first 2 shown]
	v_mul_f64 v[153:154], v[22:23], s[22:23]
	v_mul_f64 v[161:162], v[32:33], s[30:31]
	;; [unrolled: 1-line block ×4, first 2 shown]
	v_fma_f64 v[20:21], v[81:82], s[58:59], v[10:11]
	v_add_f64 v[10:11], v[125:126], v[28:29]
	v_add_f64 v[28:29], v[125:126], -v[28:29]
	v_add_f64 v[85:86], v[127:128], -v[103:104]
	v_add_f64 v[213:214], v[127:128], v[103:104]
	v_mul_f64 v[127:128], v[253:254], s[20:21]
	v_add_f64 v[16:17], v[20:21], v[16:17]
	v_fma_f64 v[20:21], v[209:210], s[34:35], v[0:1]
	v_mul_f64 v[12:13], v[10:11], s[38:39]
	v_mul_f64 v[0:1], v[28:29], s[20:21]
	buffer_store_dword v12, off, s[60:63], 0 offset:320 ; 4-byte Folded Spill
	buffer_store_dword v13, off, s[60:63], 0 offset:324 ; 4-byte Folded Spill
	;; [unrolled: 1-line block ×8, first 2 shown]
	v_add_f64 v[18:19], v[20:21], v[18:19]
	buffer_store_dword v58, off, s[60:63], 0 offset:464 ; 4-byte Folded Spill
	buffer_store_dword v59, off, s[60:63], 0 offset:468 ; 4-byte Folded Spill
	;; [unrolled: 1-line block ×4, first 2 shown]
	v_mul_f64 v[147:148], v[10:11], s[18:19]
	v_mul_f64 v[159:160], v[28:29], s[6:7]
	;; [unrolled: 1-line block ×4, first 2 shown]
	v_fma_f64 v[20:21], v[85:86], s[48:49], v[12:13]
	v_add_f64 v[30:31], v[121:122], v[54:55]
	v_add_f64 v[24:25], v[121:122], -v[54:55]
	v_add_f64 v[89:90], v[123:124], -v[58:59]
	v_add_f64 v[217:218], v[123:124], v[58:59]
	v_mul_f64 v[58:59], v[253:254], s[36:37]
	v_mul_f64 v[54:55], v[26:27], s[34:35]
	v_add_f64 v[16:17], v[20:21], v[16:17]
	v_fma_f64 v[20:21], v[213:214], s[38:39], v[0:1]
	v_mul_f64 v[12:13], v[30:31], s[28:29]
	buffer_store_dword v12, off, s[60:63], 0 offset:328 ; 4-byte Folded Spill
	buffer_store_dword v13, off, s[60:63], 0 offset:332 ; 4-byte Folded Spill
	v_mul_f64 v[0:1], v[24:25], s[14:15]
	buffer_store_dword v0, off, s[60:63], 0 offset:408 ; 4-byte Folded Spill
	buffer_store_dword v1, off, s[60:63], 0 offset:412 ; 4-byte Folded Spill
	v_add_f64 v[18:19], v[20:21], v[18:19]
	v_mul_f64 v[143:144], v[30:31], s[34:35]
	v_mul_f64 v[155:156], v[24:25], s[58:59]
	;; [unrolled: 1-line block ×4, first 2 shown]
	v_fma_f64 v[20:21], v[89:90], s[56:57], v[12:13]
	v_add_f64 v[16:17], v[20:21], v[16:17]
	v_fma_f64 v[20:21], v[217:218], s[28:29], v[0:1]
	v_mov_b32_e32 v0, v48
	v_mov_b32_e32 v1, v49
	buffer_store_dword v0, off, s[60:63], 0 offset:512 ; 4-byte Folded Spill
	buffer_store_dword v1, off, s[60:63], 0 offset:516 ; 4-byte Folded Spill
	buffer_store_dword v52, off, s[60:63], 0 offset:552 ; 4-byte Folded Spill
	buffer_store_dword v53, off, s[60:63], 0 offset:556 ; 4-byte Folded Spill
	buffer_store_dword v50, off, s[60:63], 0 offset:528 ; 4-byte Folded Spill
	buffer_store_dword v51, off, s[60:63], 0 offset:532 ; 4-byte Folded Spill
	buffer_store_dword v56, off, s[60:63], 0 offset:568 ; 4-byte Folded Spill
	buffer_store_dword v57, off, s[60:63], 0 offset:572 ; 4-byte Folded Spill
	v_mul_f64 v[48:49], v[30:31], s[18:19]
	v_add_f64 v[18:19], v[20:21], v[18:19]
	v_add_f64 v[4:5], v[52:53], v[0:1]
	v_add_f64 v[189:190], v[56:57], -v[50:51]
	v_add_f64 v[221:222], v[56:57], v[50:51]
	v_mul_f64 v[56:57], v[251:252], s[22:23]
	v_mul_f64 v[50:51], v[10:11], s[12:13]
	;; [unrolled: 1-line block ×3, first 2 shown]
	buffer_store_dword v12, off, s[60:63], 0 offset:344 ; 4-byte Folded Spill
	buffer_store_dword v13, off, s[60:63], 0 offset:348 ; 4-byte Folded Spill
	v_mul_f64 v[141:142], v[4:5], s[12:13]
	v_fma_f64 v[20:21], v[189:190], s[50:51], v[12:13]
	v_add_f64 v[12:13], v[52:53], -v[0:1]
	v_mul_f64 v[52:53], v[22:23], s[28:29]
	v_add_f64 v[16:17], v[20:21], v[16:17]
	v_mul_f64 v[0:1], v[12:13], s[10:11]
	buffer_store_dword v0, off, s[60:63], 0 offset:416 ; 4-byte Folded Spill
	buffer_store_dword v1, off, s[60:63], 0 offset:420 ; 4-byte Folded Spill
	v_mul_f64 v[151:152], v[12:13], s[42:43]
	v_mul_f64 v[107:108], v[12:13], s[6:7]
	v_fma_f64 v[20:21], v[221:222], s[24:25], v[0:1]
	v_mov_b32_e32 v0, v38
	v_mov_b32_e32 v1, v39
	;; [unrolled: 1-line block ×4, first 2 shown]
	buffer_store_dword v0, off, s[60:63], 0 offset:584 ; 4-byte Folded Spill
	buffer_store_dword v1, off, s[60:63], 0 offset:588 ; 4-byte Folded Spill
	;; [unrolled: 1-line block ×8, first 2 shown]
	v_mul_f64 v[42:43], v[32:33], s[56:57]
	v_add_f64 v[18:19], v[20:21], v[18:19]
	v_add_f64 v[8:9], v[0:1], -v[38:39]
	v_add_f64 v[199:200], v[44:45], v[46:47]
	v_add_f64 v[197:198], v[44:45], -v[46:47]
	v_mul_f64 v[46:47], v[4:5], s[40:41]
	v_mul_f64 v[44:45], v[36:37], s[46:47]
	;; [unrolled: 1-line block ×3, first 2 shown]
	buffer_store_dword v6, off, s[60:63], 0 offset:376 ; 4-byte Folded Spill
	buffer_store_dword v7, off, s[60:63], 0 offset:380 ; 4-byte Folded Spill
	v_mul_f64 v[149:150], v[8:9], s[14:15]
	v_mul_f64 v[103:104], v[8:9], s[46:47]
	v_fma_f64 v[20:21], v[199:200], s[18:19], v[6:7]
	v_add_f64 v[6:7], v[0:1], v[38:39]
	v_add_f64 v[18:19], v[20:21], v[18:19]
	v_mul_f64 v[0:1], v[6:7], s[18:19]
	buffer_store_dword v0, off, s[60:63], 0 offset:368 ; 4-byte Folded Spill
	buffer_store_dword v1, off, s[60:63], 0 offset:372 ; 4-byte Folded Spill
	v_mul_f64 v[145:146], v[6:7], s[28:29]
	v_fma_f64 v[20:21], v[197:198], s[52:53], v[0:1]
	v_mul_f64 v[0:1], v[251:252], s[34:35]
	v_add_f64 v[16:17], v[20:21], v[16:17]
	v_mul_f64 v[20:21], v[18:19], v[2:3]
	v_mul_f64 v[2:3], v[16:17], v[2:3]
	v_fma_f64 v[20:21], v[16:17], v[93:94], v[20:21]
	v_fma_f64 v[16:17], v[14:15], s[54:55], v[165:166]
	v_fma_f64 v[18:19], v[18:19], v[93:94], -v[2:3]
	buffer_store_dword v18, off, s[60:63], 0 offset:4 ; 4-byte Folded Spill
	buffer_store_dword v19, off, s[60:63], 0 offset:8 ; 4-byte Folded Spill
	;; [unrolled: 1-line block ×6, first 2 shown]
	v_fma_f64 v[20:21], v[40:41], s[40:41], v[58:59]
	v_add_f64 v[16:17], v[71:72], v[16:17]
	v_mul_f64 v[93:94], v[6:7], s[22:23]
	v_fma_f64 v[58:59], v[40:41], s[40:41], -v[58:59]
	v_add_f64 v[20:21], v[69:70], v[20:21]
	v_add_f64 v[58:59], v[69:70], v[58:59]
	v_fma_f64 v[18:19], v[75:76], s[58:59], v[0:1]
	v_mul_f64 v[0:1], v[36:37], s[26:27]
	buffer_store_dword v0, off, s[60:63], 0 offset:640 ; 4-byte Folded Spill
	buffer_store_dword v1, off, s[60:63], 0 offset:644 ; 4-byte Folded Spill
	v_add_f64 v[16:17], v[18:19], v[16:17]
	v_fma_f64 v[38:39], v[195:196], s[34:35], v[0:1]
	v_mul_f64 v[0:1], v[26:27], s[28:29]
	buffer_store_dword v0, off, s[60:63], 0 offset:704 ; 4-byte Folded Spill
	buffer_store_dword v1, off, s[60:63], 0 offset:708 ; 4-byte Folded Spill
	;; [unrolled: 5-line block ×13, first 2 shown]
	v_add_f64 v[20:21], v[38:39], v[20:21]
	v_fma_f64 v[38:39], v[197:198], s[42:43], v[0:1]
	v_mul_f64 v[0:1], v[251:252], s[28:29]
	v_add_f64 v[16:17], v[38:39], v[16:17]
	v_mul_f64 v[38:39], v[20:21], v[87:88]
	v_mul_f64 v[87:88], v[16:17], v[87:88]
	v_fma_f64 v[18:19], v[16:17], v[91:92], v[38:39]
	v_fma_f64 v[16:17], v[20:21], v[91:92], -v[87:88]
	buffer_store_dword v16, off, s[60:63], 0 offset:20 ; 4-byte Folded Spill
	buffer_store_dword v17, off, s[60:63], 0 offset:24 ; 4-byte Folded Spill
	;; [unrolled: 1-line block ×6, first 2 shown]
	v_fma_f64 v[16:17], v[14:15], s[46:47], v[131:132]
	v_mul_f64 v[91:92], v[28:29], s[42:43]
	v_add_f64 v[16:17], v[71:72], v[16:17]
	v_fma_f64 v[20:21], v[75:76], s[56:57], v[0:1]
	v_mul_f64 v[0:1], v[36:37], s[14:15]
	buffer_store_dword v0, off, s[60:63], 0 offset:744 ; 4-byte Folded Spill
	buffer_store_dword v1, off, s[60:63], 0 offset:748 ; 4-byte Folded Spill
	v_add_f64 v[16:17], v[20:21], v[16:17]
	v_fma_f64 v[20:21], v[40:41], s[22:23], v[167:168]
	v_add_f64 v[20:21], v[69:70], v[20:21]
	v_fma_f64 v[38:39], v[195:196], s[28:29], v[0:1]
	v_mul_f64 v[0:1], v[26:27], s[18:19]
	buffer_store_dword v0, off, s[60:63], 0 offset:800 ; 4-byte Folded Spill
	buffer_store_dword v1, off, s[60:63], 0 offset:804 ; 4-byte Folded Spill
	v_add_f64 v[20:21], v[38:39], v[20:21]
	v_fma_f64 v[38:39], v[79:80], s[6:7], v[0:1]
	v_mul_f64 v[0:1], v[34:35], s[52:53]
	buffer_store_dword v0, off, s[60:63], 0 offset:752 ; 4-byte Folded Spill
	buffer_store_dword v1, off, s[60:63], 0 offset:756 ; 4-byte Folded Spill
	;; [unrolled: 5-line block ×7, first 2 shown]
	v_add_f64 v[38:39], v[38:39], v[20:21]
	v_mul_f64 v[20:21], v[12:13], s[54:55]
	v_fma_f64 v[87:88], v[89:90], s[44:45], v[0:1]
	v_mul_f64 v[0:1], v[24:25], s[42:43]
	buffer_store_dword v0, off, s[60:63], 0 offset:808 ; 4-byte Folded Spill
	buffer_store_dword v1, off, s[60:63], 0 offset:812 ; 4-byte Folded Spill
	v_add_f64 v[16:17], v[87:88], v[16:17]
	v_fma_f64 v[87:88], v[217:218], s[12:13], v[0:1]
	v_mul_f64 v[0:1], v[4:5], s[34:35]
	buffer_store_dword v0, off, s[60:63], 0 offset:864 ; 4-byte Folded Spill
	buffer_store_dword v1, off, s[60:63], 0 offset:868 ; 4-byte Folded Spill
	v_add_f64 v[38:39], v[87:88], v[38:39]
	;; [unrolled: 5-line block ×4, first 2 shown]
	v_mul_f64 v[87:88], v[253:254], s[14:15]
	v_fma_f64 v[121:122], v[199:200], s[24:25], v[0:1]
	v_mul_f64 v[0:1], v[6:7], s[24:25]
	buffer_store_dword v0, off, s[60:63], 0 offset:848 ; 4-byte Folded Spill
	buffer_store_dword v1, off, s[60:63], 0 offset:852 ; 4-byte Folded Spill
	v_add_f64 v[121:122], v[121:122], v[38:39]
	v_fma_f64 v[38:39], v[40:41], s[34:35], v[133:134]
	v_fma_f64 v[245:246], v[197:198], s[50:51], v[0:1]
	v_mul_f64 v[0:1], v[251:252], s[18:19]
	v_add_f64 v[16:17], v[245:246], v[16:17]
	v_mul_f64 v[245:246], v[121:122], v[111:112]
	v_mul_f64 v[111:112], v[16:17], v[111:112]
	v_fma_f64 v[18:19], v[16:17], v[109:110], v[245:246]
	v_mul_f64 v[245:246], v[73:74], s[34:35]
	v_fma_f64 v[16:17], v[121:122], v[109:110], -v[111:112]
	buffer_store_dword v16, off, s[60:63], 0 offset:36 ; 4-byte Folded Spill
	buffer_store_dword v17, off, s[60:63], 0 offset:40 ; 4-byte Folded Spill
	buffer_store_dword v18, off, s[60:63], 0 offset:44 ; 4-byte Folded Spill
	buffer_store_dword v19, off, s[60:63], 0 offset:48 ; 4-byte Folded Spill
	buffer_store_dword v0, off, s[60:63], 0 offset:888 ; 4-byte Folded Spill
	buffer_store_dword v1, off, s[60:63], 0 offset:892 ; 4-byte Folded Spill
	v_add_f64 v[111:112], v[69:70], v[38:39]
	v_fma_f64 v[16:17], v[14:15], s[58:59], v[245:246]
	v_mul_f64 v[38:39], v[24:25], s[6:7]
	v_add_f64 v[16:17], v[71:72], v[16:17]
	v_fma_f64 v[109:110], v[75:76], s[52:53], v[0:1]
	v_mul_f64 v[0:1], v[36:37], s[6:7]
	buffer_store_dword v0, off, s[60:63], 0 offset:872 ; 4-byte Folded Spill
	buffer_store_dword v1, off, s[60:63], 0 offset:876 ; 4-byte Folded Spill
	v_add_f64 v[109:110], v[109:110], v[16:17]
	v_fma_f64 v[121:122], v[195:196], s[18:19], v[0:1]
	v_mul_f64 v[0:1], v[26:27], s[38:39]
	buffer_store_dword v0, off, s[60:63], 0 offset:896 ; 4-byte Folded Spill
	buffer_store_dword v1, off, s[60:63], 0 offset:900 ; 4-byte Folded Spill
	v_add_f64 v[111:112], v[121:122], v[111:112]
	v_mul_f64 v[26:27], v[26:27], s[24:25]
	v_fma_f64 v[121:122], v[79:80], s[20:21], v[0:1]
	v_mul_f64 v[0:1], v[34:35], s[48:49]
	buffer_store_dword v0, off, s[60:63], 0 offset:880 ; 4-byte Folded Spill
	buffer_store_dword v1, off, s[60:63], 0 offset:884 ; 4-byte Folded Spill
	v_add_f64 v[109:110], v[121:122], v[109:110]
	v_mul_f64 v[121:122], v[4:5], s[18:19]
	v_fma_f64 v[249:250], v[207:208], s[38:39], v[0:1]
	v_add_f64 v[111:112], v[249:250], v[111:112]
	v_mul_f64 v[249:250], v[22:23], s[12:13]
	v_mul_f64 v[22:23], v[22:23], s[40:41]
	v_fma_f64 v[247:248], v[81:82], s[42:43], v[249:250]
	v_add_f64 v[109:110], v[247:248], v[109:110]
	v_mul_f64 v[247:248], v[32:33], s[44:45]
	v_fma_f64 v[243:244], v[209:210], s[12:13], v[247:248]
	v_add_f64 v[111:112], v[243:244], v[111:112]
	v_mul_f64 v[243:244], v[10:11], s[22:23]
	v_mul_f64 v[10:11], v[10:11], s[28:29]
	v_fma_f64 v[239:240], v[85:86], s[46:47], v[243:244]
	v_add_f64 v[109:110], v[239:240], v[109:110]
	v_mul_f64 v[239:240], v[28:29], s[30:31]
	v_fma_f64 v[241:242], v[213:214], s[22:23], v[239:240]
	v_add_f64 v[111:112], v[241:242], v[111:112]
	;; [unrolled: 3-line block ×3, first 2 shown]
	v_mul_f64 v[229:230], v[24:25], s[10:11]
	v_mul_f64 v[24:25], v[24:25], s[46:47]
	v_fma_f64 v[191:192], v[217:218], s[24:25], v[229:230]
	v_add_f64 v[111:112], v[191:192], v[111:112]
	v_mul_f64 v[191:192], v[4:5], s[28:29]
	v_mul_f64 v[4:5], v[4:5], s[38:39]
	v_fma_f64 v[219:220], v[189:190], s[14:15], v[191:192]
	v_add_f64 v[109:110], v[219:220], v[109:110]
	;; [unrolled: 4-line block ×3, first 2 shown]
	v_mul_f64 v[227:228], v[8:9], s[54:55]
	v_fma_f64 v[215:216], v[199:200], s[40:41], v[227:228]
	v_add_f64 v[111:112], v[215:216], v[111:112]
	v_mul_f64 v[215:216], v[6:7], s[40:41]
	v_fma_f64 v[211:212], v[197:198], s[36:37], v[215:216]
	v_add_f64 v[109:110], v[211:212], v[109:110]
	v_mul_f64 v[211:212], v[111:112], v[139:140]
	v_mul_f64 v[139:140], v[109:110], v[139:140]
	v_fma_f64 v[18:19], v[109:110], v[137:138], v[211:212]
	v_mul_f64 v[211:212], v[73:74], s[38:39]
	v_fma_f64 v[16:17], v[111:112], v[137:138], -v[139:140]
	v_fma_f64 v[111:112], v[75:76], s[10:11], v[163:164]
	v_fma_f64 v[109:110], v[14:15], s[48:49], v[211:212]
	;; [unrolled: 1-line block ×3, first 2 shown]
	buffer_store_dword v16, off, s[60:63], 0 offset:52 ; 4-byte Folded Spill
	buffer_store_dword v17, off, s[60:63], 0 offset:56 ; 4-byte Folded Spill
	;; [unrolled: 1-line block ×4, first 2 shown]
	v_mul_f64 v[139:140], v[251:252], s[38:39]
	v_add_f64 v[109:110], v[71:72], v[109:110]
	v_add_f64 v[109:110], v[111:112], v[109:110]
	v_fma_f64 v[111:112], v[40:41], s[38:39], v[127:128]
	v_fma_f64 v[127:128], v[40:41], s[38:39], -v[127:128]
	v_add_f64 v[111:112], v[69:70], v[111:112]
	v_add_f64 v[127:128], v[69:70], v[127:128]
	;; [unrolled: 1-line block ×3, first 2 shown]
	v_fma_f64 v[137:138], v[79:80], s[36:37], v[157:158]
	v_add_f64 v[109:110], v[137:138], v[109:110]
	v_fma_f64 v[137:138], v[207:208], s[40:41], v[169:170]
	v_add_f64 v[111:112], v[137:138], v[111:112]
	;; [unrolled: 2-line block ×12, first 2 shown]
	v_mul_f64 v[137:138], v[111:112], v[77:78]
	v_mul_f64 v[77:78], v[109:110], v[77:78]
	v_fma_f64 v[18:19], v[109:110], v[83:84], v[137:138]
	v_fma_f64 v[109:110], v[75:76], s[20:21], v[139:140]
	v_mul_f64 v[137:138], v[36:37], s[48:49]
	v_mul_f64 v[36:37], v[36:37], s[44:45]
	v_fma_f64 v[16:17], v[111:112], v[83:84], -v[77:78]
	v_mul_f64 v[77:78], v[73:74], s[28:29]
	buffer_store_dword v16, off, s[60:63], 0 offset:80 ; 4-byte Folded Spill
	buffer_store_dword v17, off, s[60:63], 0 offset:84 ; 4-byte Folded Spill
	;; [unrolled: 1-line block ×4, first 2 shown]
	v_fma_f64 v[83:84], v[14:15], s[56:57], v[77:78]
	v_fma_f64 v[111:112], v[195:196], s[38:39], v[137:138]
	;; [unrolled: 1-line block ×3, first 2 shown]
	v_add_f64 v[83:84], v[71:72], v[83:84]
	v_add_f64 v[77:78], v[71:72], v[77:78]
	;; [unrolled: 1-line block ×3, first 2 shown]
	v_fma_f64 v[109:110], v[79:80], s[44:45], v[135:136]
	v_add_f64 v[83:84], v[109:110], v[83:84]
	v_fma_f64 v[109:110], v[81:82], s[50:51], v[129:130]
	v_add_f64 v[83:84], v[109:110], v[83:84]
	;; [unrolled: 2-line block ×5, first 2 shown]
	v_fma_f64 v[109:110], v[40:41], s[28:29], v[87:88]
	v_fma_f64 v[87:88], v[40:41], s[28:29], -v[87:88]
	v_add_f64 v[109:110], v[69:70], v[109:110]
	v_add_f64 v[87:88], v[69:70], v[87:88]
	;; [unrolled: 1-line block ×3, first 2 shown]
	v_fma_f64 v[111:112], v[207:208], s[12:13], v[119:120]
	v_add_f64 v[109:110], v[111:112], v[109:110]
	v_fma_f64 v[111:112], v[209:210], s[24:25], v[117:118]
	v_add_f64 v[109:110], v[111:112], v[109:110]
	;; [unrolled: 2-line block ×7, first 2 shown]
	v_mul_f64 v[111:112], v[109:110], v[95:96]
	v_mul_f64 v[95:96], v[83:84], v[95:96]
	v_fma_f64 v[18:19], v[83:84], v[105:106], v[111:112]
	v_mul_f64 v[111:112], v[34:35], s[26:27]
	v_mul_f64 v[34:35], v[34:35], s[10:11]
	v_fma_f64 v[16:17], v[109:110], v[105:106], -v[95:96]
	buffer_store_dword v16, off, s[60:63], 0 offset:152 ; 4-byte Folded Spill
	buffer_store_dword v17, off, s[60:63], 0 offset:156 ; 4-byte Folded Spill
	;; [unrolled: 1-line block ×4, first 2 shown]
	s_clause 0x3
	buffer_load_dword v2, off, s[60:63], 0 offset:240
	buffer_load_dword v3, off, s[60:63], 0 offset:244
	buffer_load_dword v0, off, s[60:63], 0 offset:232
	buffer_load_dword v1, off, s[60:63], 0 offset:236
	v_mul_f64 v[105:106], v[73:74], s[24:25]
	v_fma_f64 v[109:110], v[195:196], s[22:23], v[44:45]
	v_mul_f64 v[18:19], v[8:9], s[20:21]
	v_mul_f64 v[16:17], v[6:7], s[38:39]
	;; [unrolled: 1-line block ×5, first 2 shown]
	v_fma_f64 v[44:45], v[195:196], s[22:23], -v[44:45]
	s_waitcnt vmcnt(2)
	v_mul_f64 v[83:84], v[2:3], v[237:238]
	s_waitcnt vmcnt(0)
	v_mul_f64 v[95:96], v[0:1], v[237:238]
	v_fma_f64 v[237:238], v[75:76], s[30:31], v[56:57]
	v_fma_f64 v[56:57], v[75:76], s[46:47], v[56:57]
	v_fma_f64 v[83:84], v[235:236], v[0:1], -v[83:84]
	v_fma_f64 v[95:96], v[235:236], v[2:3], v[95:96]
	v_fma_f64 v[235:236], v[14:15], s[50:51], v[105:106]
	v_mul_f64 v[2:3], v[253:254], s[10:11]
	v_add_f64 v[235:236], v[71:72], v[235:236]
	v_add_f64 v[235:236], v[237:238], v[235:236]
	v_fma_f64 v[237:238], v[79:80], s[58:59], v[54:55]
	v_fma_f64 v[54:55], v[79:80], s[26:27], v[54:55]
	v_add_f64 v[235:236], v[237:238], v[235:236]
	v_fma_f64 v[237:238], v[81:82], s[14:15], v[52:53]
	v_fma_f64 v[52:53], v[81:82], s[56:57], v[52:53]
	;; [unrolled: 3-line block ×5, first 2 shown]
	v_add_f64 v[235:236], v[237:238], v[235:236]
	v_fma_f64 v[237:238], v[40:41], s[24:25], v[2:3]
	v_fma_f64 v[2:3], v[40:41], s[24:25], -v[2:3]
	v_add_f64 v[237:238], v[69:70], v[237:238]
	v_add_f64 v[2:3], v[69:70], v[2:3]
	;; [unrolled: 1-line block ×3, first 2 shown]
	v_fma_f64 v[237:238], v[207:208], s[34:35], v[111:112]
	v_add_f64 v[2:3], v[44:45], v[2:3]
	v_fma_f64 v[44:45], v[207:208], s[34:35], -v[111:112]
	v_add_f64 v[109:110], v[237:238], v[109:110]
	v_fma_f64 v[237:238], v[209:210], s[28:29], v[42:43]
	v_add_f64 v[2:3], v[44:45], v[2:3]
	v_fma_f64 v[42:43], v[209:210], s[28:29], -v[42:43]
	v_add_f64 v[109:110], v[237:238], v[109:110]
	v_fma_f64 v[237:238], v[213:214], s[12:13], v[91:92]
	v_add_f64 v[2:3], v[42:43], v[2:3]
	v_add_f64 v[109:110], v[237:238], v[109:110]
	v_fma_f64 v[237:238], v[217:218], s[18:19], v[38:39]
	v_add_f64 v[109:110], v[237:238], v[109:110]
	v_fma_f64 v[237:238], v[221:222], s[40:41], v[20:21]
	v_fma_f64 v[20:21], v[221:222], s[40:41], -v[20:21]
	v_add_f64 v[109:110], v[237:238], v[109:110]
	v_fma_f64 v[237:238], v[199:200], s[38:39], v[18:19]
	v_fma_f64 v[18:19], v[199:200], s[38:39], -v[18:19]
	v_add_f64 v[109:110], v[237:238], v[109:110]
	v_fma_f64 v[237:238], v[197:198], s[48:49], v[16:17]
	v_add_f64 v[235:236], v[237:238], v[235:236]
	v_mul_f64 v[237:238], v[109:110], v[95:96]
	v_mul_f64 v[95:96], v[235:236], v[95:96]
	v_fma_f64 v[237:238], v[235:236], v[83:84], v[237:238]
	v_fma_f64 v[235:236], v[109:110], v[83:84], -v[95:96]
	s_clause 0x3
	buffer_load_dword v109, off, s[60:63], 0 offset:224
	buffer_load_dword v110, off, s[60:63], 0 offset:228
	;; [unrolled: 1-line block ×4, first 2 shown]
	s_waitcnt vmcnt(2)
	v_mul_f64 v[83:84], v[109:110], v[99:100]
	s_waitcnt vmcnt(0)
	v_mul_f64 v[95:96], v[0:1], v[99:100]
	v_fma_f64 v[99:100], v[14:15], s[52:53], v[73:74]
	v_fma_f64 v[73:74], v[14:15], s[6:7], v[73:74]
	v_fma_f64 v[83:84], v[97:98], v[0:1], -v[83:84]
	v_fma_f64 v[95:96], v[97:98], v[109:110], v[95:96]
	v_mul_f64 v[97:98], v[251:252], s[12:13]
	v_add_f64 v[99:100], v[71:72], v[99:100]
	s_clause 0x1
	buffer_load_dword v0, off, s[60:63], 0 offset:176
	buffer_load_dword v1, off, s[60:63], 0 offset:180
	v_add_f64 v[73:74], v[71:72], v[73:74]
	v_fma_f64 v[109:110], v[75:76], s[42:43], v[97:98]
	v_fma_f64 v[97:98], v[75:76], s[44:45], v[97:98]
	v_add_f64 v[99:100], v[109:110], v[99:100]
	v_fma_f64 v[109:110], v[79:80], s[50:51], v[26:27]
	v_add_f64 v[73:74], v[97:98], v[73:74]
	v_fma_f64 v[26:27], v[79:80], s[10:11], v[26:27]
	v_add_f64 v[99:100], v[109:110], v[99:100]
	v_fma_f64 v[109:110], v[81:82], s[36:37], v[22:23]
	v_add_f64 v[26:27], v[26:27], v[73:74]
	v_fma_f64 v[22:23], v[81:82], s[54:55], v[22:23]
	v_add_f64 v[99:100], v[109:110], v[99:100]
	v_fma_f64 v[109:110], v[85:86], s[56:57], v[10:11]
	v_add_f64 v[22:23], v[22:23], v[26:27]
	v_fma_f64 v[10:11], v[85:86], s[14:15], v[10:11]
	v_add_f64 v[99:100], v[109:110], v[99:100]
	v_mul_f64 v[109:110], v[30:31], s[22:23]
	v_add_f64 v[10:11], v[10:11], v[22:23]
	v_fma_f64 v[30:31], v[89:90], s[30:31], v[109:110]
	v_fma_f64 v[22:23], v[89:90], s[46:47], v[109:110]
	;; [unrolled: 1-line block ×3, first 2 shown]
	v_add_f64 v[165:166], v[69:70], v[193:194]
	v_add_f64 v[30:31], v[30:31], v[99:100]
	v_fma_f64 v[99:100], v[189:190], s[48:49], v[4:5]
	v_add_f64 v[10:11], v[22:23], v[10:11]
	v_fma_f64 v[4:5], v[189:190], s[20:21], v[4:5]
	v_fma_f64 v[22:23], v[195:196], s[12:13], -v[36:37]
	v_add_f64 v[109:110], v[71:72], v[109:110]
	v_add_f64 v[30:31], v[99:100], v[30:31]
	v_mul_f64 v[99:100], v[253:254], s[6:7]
	v_fma_f64 v[253:254], v[195:196], s[12:13], v[36:37]
	v_add_f64 v[4:5], v[4:5], v[10:11]
	v_fma_f64 v[37:38], v[217:218], s[18:19], -v[38:39]
	v_fma_f64 v[251:252], v[40:41], s[18:19], v[99:100]
	v_fma_f64 v[10:11], v[40:41], s[18:19], -v[99:100]
	v_fma_f64 v[99:100], v[14:15], s[26:27], v[245:246]
	v_add_f64 v[251:252], v[69:70], v[251:252]
	v_add_f64 v[10:11], v[69:70], v[10:11]
	;; [unrolled: 1-line block ×4, first 2 shown]
	v_fma_f64 v[253:254], v[207:208], s[24:25], v[34:35]
	v_add_f64 v[10:11], v[22:23], v[10:11]
	v_fma_f64 v[22:23], v[207:208], s[24:25], -v[34:35]
	v_add_f64 v[251:252], v[253:254], v[251:252]
	v_mul_f64 v[253:254], v[32:33], s[54:55]
	v_add_f64 v[10:11], v[22:23], v[10:11]
	v_fma_f64 v[32:33], v[209:210], s[40:41], v[253:254]
	v_fma_f64 v[22:23], v[209:210], s[40:41], -v[253:254]
	v_add_f64 v[32:33], v[32:33], v[251:252]
	v_mul_f64 v[251:252], v[28:29], s[14:15]
	v_add_f64 v[10:11], v[22:23], v[10:11]
	v_fma_f64 v[28:29], v[213:214], s[28:29], v[251:252]
	v_fma_f64 v[22:23], v[213:214], s[28:29], -v[251:252]
	v_add_f64 v[28:29], v[28:29], v[32:33]
	v_fma_f64 v[32:33], v[217:218], s[22:23], v[24:25]
	v_add_f64 v[10:11], v[22:23], v[10:11]
	v_fma_f64 v[22:23], v[217:218], s[22:23], -v[24:25]
	v_add_f64 v[28:29], v[32:33], v[28:29]
	v_fma_f64 v[32:33], v[221:222], s[38:39], v[12:13]
	v_add_f64 v[10:11], v[22:23], v[10:11]
	;; [unrolled: 4-line block ×3, first 2 shown]
	v_fma_f64 v[8:9], v[199:200], s[34:35], -v[8:9]
	v_add_f64 v[28:29], v[32:33], v[28:29]
	v_fma_f64 v[32:33], v[197:198], s[26:27], v[6:7]
	v_fma_f64 v[6:7], v[197:198], s[58:59], v[6:7]
	v_add_f64 v[8:9], v[8:9], v[10:11]
	v_add_f64 v[30:31], v[32:33], v[30:31]
	v_mul_f64 v[32:33], v[28:29], v[95:96]
	v_add_f64 v[4:5], v[6:7], v[4:5]
	v_mul_f64 v[95:96], v[30:31], v[95:96]
	v_fma_f64 v[31:32], v[30:31], v[83:84], v[32:33]
	v_fma_f64 v[29:30], v[28:29], v[83:84], -v[95:96]
	s_clause 0x1
	buffer_load_dword v95, off, s[60:63], 0 offset:168
	buffer_load_dword v96, off, s[60:63], 0 offset:172
	s_waitcnt vmcnt(2)
	v_mul_f64 v[83:84], v[0:1], v[185:186]
	s_waitcnt vmcnt(0)
	v_fma_f64 v[83:84], v[183:184], v[95:96], -v[83:84]
	v_mul_f64 v[95:96], v[95:96], v[185:186]
	v_fma_f64 v[95:96], v[183:184], v[0:1], v[95:96]
	v_mul_f64 v[10:11], v[4:5], v[95:96]
	v_mul_f64 v[6:7], v[8:9], v[95:96]
	v_fma_f64 v[95:96], v[8:9], v[83:84], -v[10:11]
	s_clause 0x1
	buffer_load_dword v8, off, s[60:63], 0 offset:104
	buffer_load_dword v9, off, s[60:63], 0 offset:108
	v_fma_f64 v[97:98], v[4:5], v[83:84], v[6:7]
	s_clause 0xd
	buffer_load_dword v6, off, s[60:63], 0 offset:96
	buffer_load_dword v7, off, s[60:63], 0 offset:100
	;; [unrolled: 1-line block ×14, first 2 shown]
	s_waitcnt vmcnt(14)
	v_mul_f64 v[4:5], v[8:9], v[233:234]
	s_waitcnt vmcnt(12)
	v_fma_f64 v[4:5], v[231:232], v[6:7], -v[4:5]
	v_mul_f64 v[6:7], v[6:7], v[233:234]
	v_fma_f64 v[6:7], v[231:232], v[8:9], v[6:7]
	s_waitcnt vmcnt(10)
	v_mul_f64 v[8:9], v[12:13], v[181:182]
	s_waitcnt vmcnt(8)
	v_fma_f64 v[8:9], v[179:180], v[10:11], -v[8:9]
	v_mul_f64 v[10:11], v[10:11], v[181:182]
	v_fma_f64 v[10:11], v[179:180], v[12:13], v[10:11]
	s_waitcnt vmcnt(6)
	v_mul_f64 v[12:13], v[24:25], v[205:206]
	s_waitcnt vmcnt(4)
	v_fma_f64 v[12:13], v[203:204], v[22:23], v[12:13]
	v_mul_f64 v[22:23], v[22:23], v[205:206]
	v_fma_f64 v[22:23], v[203:204], v[24:25], -v[22:23]
	s_waitcnt vmcnt(2)
	v_mul_f64 v[24:25], v[0:1], v[173:174]
	s_waitcnt vmcnt(0)
	v_fma_f64 v[24:25], v[171:172], v[26:27], v[24:25]
	v_mul_f64 v[26:27], v[26:27], v[173:174]
	v_fma_f64 v[26:27], v[171:172], v[0:1], -v[26:27]
	s_clause 0x3
	buffer_load_dword v0, off, s[60:63], 0 offset:200
	buffer_load_dword v1, off, s[60:63], 0 offset:204
	;; [unrolled: 1-line block ×4, first 2 shown]
	s_waitcnt vmcnt(2)
	v_mul_f64 v[33:34], v[0:1], v[177:178]
	s_waitcnt vmcnt(0)
	v_fma_f64 v[33:34], v[175:176], v[35:36], v[33:34]
	v_mul_f64 v[35:36], v[35:36], v[177:178]
	v_fma_f64 v[35:36], v[175:176], v[0:1], -v[35:36]
	s_clause 0x3
	buffer_load_dword v0, off, s[60:63], 0 offset:688
	buffer_load_dword v1, off, s[60:63], 0 offset:692
	;; [unrolled: 1-line block ×4, first 2 shown]
	s_waitcnt vmcnt(2)
	v_mul_f64 v[73:74], v[0:1], v[63:64]
	s_waitcnt vmcnt(0)
	v_mul_f64 v[63:64], v[83:84], v[63:64]
	v_fma_f64 v[73:74], v[61:62], v[83:84], v[73:74]
	v_fma_f64 v[60:61], v[61:62], v[0:1], -v[63:64]
	s_clause 0x3
	buffer_load_dword v0, off, s[60:63], 0 offset:728
	buffer_load_dword v1, off, s[60:63], 0 offset:732
	;; [unrolled: 1-line block ×4, first 2 shown]
	s_waitcnt vmcnt(2)
	v_mul_f64 v[62:63], v[0:1], v[67:68]
	s_waitcnt vmcnt(0)
	v_mul_f64 v[67:68], v[83:84], v[67:68]
	v_fma_f64 v[62:63], v[65:66], v[83:84], v[62:63]
	v_fma_f64 v[64:65], v[65:66], v[0:1], -v[67:68]
	s_clause 0x1
	buffer_load_dword v0, off, s[60:63], 0 offset:760
	buffer_load_dword v1, off, s[60:63], 0 offset:764
	v_fma_f64 v[66:67], v[14:15], s[10:11], v[105:106]
	v_fma_f64 v[83:84], v[14:15], s[20:21], v[211:212]
	;; [unrolled: 1-line block ×3, first 2 shown]
	v_fma_f64 v[131:132], v[40:41], s[34:35], -v[133:134]
	v_fma_f64 v[133:134], v[40:41], s[22:23], -v[167:168]
	v_add_f64 v[167:168], v[71:72], v[201:202]
	v_add_f64 v[66:67], v[71:72], v[66:67]
	;; [unrolled: 1-line block ×12, first 2 shown]
	s_waitcnt vmcnt(0)
	v_fma_f64 v[14:15], v[14:15], s[42:43], v[0:1]
	s_clause 0x1
	buffer_load_dword v0, off, s[60:63], 0 offset:784
	buffer_load_dword v1, off, s[60:63], 0 offset:788
	v_add_f64 v[14:15], v[71:72], v[14:15]
	s_waitcnt vmcnt(0)
	v_fma_f64 v[0:1], v[40:41], s[12:13], -v[0:1]
	v_fma_f64 v[40:41], v[213:214], s[12:13], -v[91:92]
	v_add_f64 v[0:1], v[69:70], v[0:1]
	v_add_f64 v[2:3], v[40:41], v[2:3]
	v_fma_f64 v[39:40], v[79:80], s[54:55], v[157:158]
	v_fma_f64 v[41:42], v[207:208], s[40:41], -v[169:170]
	v_add_f64 v[2:3], v[37:38], v[2:3]
	v_fma_f64 v[37:38], v[207:208], s[12:13], -v[119:120]
	v_add_f64 v[2:3], v[20:21], v[2:3]
	v_fma_f64 v[20:21], v[79:80], s[42:43], v[135:136]
	v_add_f64 v[18:19], v[18:19], v[2:3]
	v_fma_f64 v[2:3], v[197:198], s[20:21], v[16:17]
	v_fma_f64 v[16:17], v[75:76], s[48:49], v[139:140]
	v_add_f64 v[2:3], v[2:3], v[46:47]
	v_add_f64 v[16:17], v[16:17], v[77:78]
	v_add_f64 v[16:17], v[20:21], v[16:17]
	v_fma_f64 v[20:21], v[81:82], s[10:11], v[129:130]
	v_add_f64 v[16:17], v[20:21], v[16:17]
	v_fma_f64 v[20:21], v[85:86], s[58:59], v[125:126]
	v_add_f64 v[16:17], v[20:21], v[16:17]
	;; [unrolled: 2-line block ×4, first 2 shown]
	v_fma_f64 v[20:21], v[195:196], s[38:39], -v[137:138]
	v_add_f64 v[20:21], v[20:21], v[87:88]
	v_add_f64 v[20:21], v[37:38], v[20:21]
	v_fma_f64 v[37:38], v[209:210], s[24:25], -v[117:118]
	v_add_f64 v[20:21], v[37:38], v[20:21]
	v_fma_f64 v[37:38], v[213:214], s[34:35], -v[115:116]
	;; [unrolled: 2-line block ×5, first 2 shown]
	v_add_f64 v[20:21], v[37:38], v[20:21]
	v_fma_f64 v[37:38], v[197:198], s[46:47], v[93:94]
	v_add_f64 v[16:17], v[37:38], v[16:17]
	v_fma_f64 v[37:38], v[75:76], s[50:51], v[163:164]
	v_add_f64 v[37:38], v[37:38], v[83:84]
	v_add_f64 v[37:38], v[39:40], v[37:38]
	v_fma_f64 v[39:40], v[81:82], s[30:31], v[153:154]
	v_add_f64 v[37:38], v[39:40], v[37:38]
	v_fma_f64 v[39:40], v[85:86], s[6:7], v[147:148]
	;; [unrolled: 2-line block ×4, first 2 shown]
	v_add_f64 v[37:38], v[39:40], v[37:38]
	v_fma_f64 v[39:40], v[195:196], s[24:25], -v[187:188]
	v_add_f64 v[39:40], v[39:40], v[127:128]
	v_add_f64 v[39:40], v[41:42], v[39:40]
	v_fma_f64 v[41:42], v[209:210], s[22:23], -v[161:162]
	v_add_f64 v[39:40], v[41:42], v[39:40]
	v_fma_f64 v[41:42], v[213:214], s[18:19], -v[159:160]
	;; [unrolled: 2-line block ×5, first 2 shown]
	v_add_f64 v[39:40], v[41:42], v[39:40]
	v_fma_f64 v[41:42], v[197:198], s[14:15], v[145:146]
	v_add_f64 v[37:38], v[41:42], v[37:38]
	s_clause 0x3
	buffer_load_dword v41, off, s[60:63], 0 offset:888
	buffer_load_dword v42, off, s[60:63], 0 offset:892
	;; [unrolled: 1-line block ×4, first 2 shown]
	s_waitcnt vmcnt(2)
	v_fma_f64 v[41:42], v[75:76], s[6:7], v[41:42]
	s_waitcnt vmcnt(0)
	v_fma_f64 v[43:44], v[79:80], s[48:49], v[43:44]
	v_add_f64 v[41:42], v[41:42], v[99:100]
	v_add_f64 v[41:42], v[43:44], v[41:42]
	v_fma_f64 v[43:44], v[81:82], s[44:45], v[249:250]
	v_add_f64 v[41:42], v[43:44], v[41:42]
	v_fma_f64 v[43:44], v[85:86], s[30:31], v[243:244]
	;; [unrolled: 2-line block ×4, first 2 shown]
	v_add_f64 v[41:42], v[43:44], v[41:42]
	s_clause 0x3
	buffer_load_dword v43, off, s[60:63], 0 offset:872
	buffer_load_dword v44, off, s[60:63], 0 offset:876
	;; [unrolled: 1-line block ×4, first 2 shown]
	s_waitcnt vmcnt(2)
	v_fma_f64 v[43:44], v[195:196], s[18:19], -v[43:44]
	s_waitcnt vmcnt(0)
	v_fma_f64 v[45:46], v[207:208], s[38:39], -v[45:46]
	v_add_f64 v[43:44], v[43:44], v[131:132]
	v_add_f64 v[43:44], v[45:46], v[43:44]
	v_fma_f64 v[45:46], v[209:210], s[12:13], -v[247:248]
	v_add_f64 v[43:44], v[45:46], v[43:44]
	v_fma_f64 v[45:46], v[213:214], s[22:23], -v[239:240]
	;; [unrolled: 2-line block ×5, first 2 shown]
	v_add_f64 v[43:44], v[45:46], v[43:44]
	v_fma_f64 v[45:46], v[197:198], s[54:55], v[215:216]
	v_add_f64 v[41:42], v[45:46], v[41:42]
	s_clause 0x3
	buffer_load_dword v45, off, s[60:63], 0 offset:768
	buffer_load_dword v46, off, s[60:63], 0 offset:772
	;; [unrolled: 1-line block ×4, first 2 shown]
	s_waitcnt vmcnt(2)
	v_fma_f64 v[45:46], v[75:76], s[14:15], v[45:46]
	s_waitcnt vmcnt(0)
	v_fma_f64 v[47:48], v[79:80], s[52:53], v[47:48]
	v_add_f64 v[45:46], v[45:46], v[105:106]
	v_add_f64 v[45:46], v[47:48], v[45:46]
	s_clause 0x1
	buffer_load_dword v47, off, s[60:63], 0 offset:816
	buffer_load_dword v48, off, s[60:63], 0 offset:820
	s_waitcnt vmcnt(0)
	v_fma_f64 v[47:48], v[81:82], s[48:49], v[47:48]
	v_add_f64 v[45:46], v[47:48], v[45:46]
	s_clause 0x1
	buffer_load_dword v47, off, s[60:63], 0 offset:832
	buffer_load_dword v48, off, s[60:63], 0 offset:836
	s_waitcnt vmcnt(0)
	v_fma_f64 v[47:48], v[85:86], s[54:55], v[47:48]
	;; [unrolled: 6-line block ×4, first 2 shown]
	v_add_f64 v[45:46], v[47:48], v[45:46]
	s_clause 0x3
	buffer_load_dword v47, off, s[60:63], 0 offset:744
	buffer_load_dword v48, off, s[60:63], 0 offset:748
	;; [unrolled: 1-line block ×4, first 2 shown]
	s_waitcnt vmcnt(2)
	v_fma_f64 v[47:48], v[195:196], s[28:29], -v[47:48]
	s_waitcnt vmcnt(0)
	v_fma_f64 v[49:50], v[207:208], s[18:19], -v[49:50]
	v_add_f64 v[47:48], v[47:48], v[133:134]
	v_add_f64 v[47:48], v[49:50], v[47:48]
	s_clause 0x1
	buffer_load_dword v49, off, s[60:63], 0 offset:776
	buffer_load_dword v50, off, s[60:63], 0 offset:780
	s_waitcnt vmcnt(0)
	v_fma_f64 v[49:50], v[209:210], s[38:39], -v[49:50]
	v_add_f64 v[47:48], v[49:50], v[47:48]
	s_clause 0x1
	buffer_load_dword v49, off, s[60:63], 0 offset:792
	buffer_load_dword v50, off, s[60:63], 0 offset:796
	s_waitcnt vmcnt(0)
	v_fma_f64 v[49:50], v[213:214], s[40:41], -v[49:50]
	;; [unrolled: 6-line block ×5, first 2 shown]
	v_add_f64 v[47:48], v[49:50], v[47:48]
	s_clause 0x1
	buffer_load_dword v49, off, s[60:63], 0 offset:848
	buffer_load_dword v50, off, s[60:63], 0 offset:852
	s_waitcnt vmcnt(0)
	v_fma_f64 v[49:50], v[197:198], s[10:11], v[49:50]
	v_add_f64 v[45:46], v[49:50], v[45:46]
	s_clause 0x7
	buffer_load_dword v49, off, s[60:63], 0 offset:448
	buffer_load_dword v50, off, s[60:63], 0 offset:452
	;; [unrolled: 1-line block ×8, first 2 shown]
	s_waitcnt vmcnt(6)
	v_add_f64 v[49:50], v[165:166], v[49:50]
	s_waitcnt vmcnt(4)
	v_add_f64 v[51:52], v[167:168], v[51:52]
	s_waitcnt vmcnt(2)
	v_fma_f64 v[53:54], v[75:76], s[26:27], v[53:54]
	s_waitcnt vmcnt(0)
	v_add_f64 v[49:50], v[49:50], v[55:56]
	s_clause 0x1
	buffer_load_dword v55, off, s[60:63], 0 offset:472
	buffer_load_dword v56, off, s[60:63], 0 offset:476
	v_add_f64 v[53:54], v[53:54], v[109:110]
	s_waitcnt vmcnt(0)
	v_add_f64 v[51:52], v[51:52], v[55:56]
	s_clause 0x1
	buffer_load_dword v55, off, s[60:63], 0 offset:704
	buffer_load_dword v56, off, s[60:63], 0 offset:708
	s_waitcnt vmcnt(0)
	v_fma_f64 v[55:56], v[79:80], s[14:15], v[55:56]
	v_add_f64 v[53:54], v[55:56], v[53:54]
	s_clause 0x1
	buffer_load_dword v55, off, s[60:63], 0 offset:496
	buffer_load_dword v56, off, s[60:63], 0 offset:500
	s_waitcnt vmcnt(0)
	v_add_f64 v[49:50], v[49:50], v[55:56]
	s_clause 0x1
	buffer_load_dword v55, off, s[60:63], 0 offset:488
	buffer_load_dword v56, off, s[60:63], 0 offset:492
	s_waitcnt vmcnt(0)
	v_add_f64 v[51:52], v[51:52], v[55:56]
	s_clause 0x1
	buffer_load_dword v55, off, s[60:63], 0 offset:712
	buffer_load_dword v56, off, s[60:63], 0 offset:716
	s_waitcnt vmcnt(0)
	v_fma_f64 v[55:56], v[81:82], s[6:7], v[55:56]
	v_add_f64 v[53:54], v[55:56], v[53:54]
	s_clause 0x1
	buffer_load_dword v55, off, s[60:63], 0 offset:520
	buffer_load_dword v56, off, s[60:63], 0 offset:524
	s_waitcnt vmcnt(0)
	v_add_f64 v[49:50], v[49:50], v[55:56]
	s_clause 0x1
	buffer_load_dword v55, off, s[60:63], 0 offset:504
	buffer_load_dword v56, off, s[60:63], 0 offset:508
	;; [unrolled: 16-line block ×3, first 2 shown]
	s_waitcnt vmcnt(0)
	v_add_f64 v[51:52], v[51:52], v[55:56]
	s_clause 0x1
	buffer_load_dword v55, off, s[60:63], 0 offset:640
	buffer_load_dword v56, off, s[60:63], 0 offset:644
	s_waitcnt vmcnt(0)
	v_fma_f64 v[55:56], v[195:196], s[34:35], -v[55:56]
	v_add_f64 v[55:56], v[55:56], v[58:59]
	s_clause 0x1
	buffer_load_dword v57, off, s[60:63], 0 offset:568
	buffer_load_dword v58, off, s[60:63], 0 offset:572
	s_waitcnt vmcnt(0)
	v_add_f64 v[49:50], v[49:50], v[57:58]
	s_clause 0x1
	buffer_load_dword v57, off, s[60:63], 0 offset:552
	buffer_load_dword v58, off, s[60:63], 0 offset:556
	s_waitcnt vmcnt(0)
	v_add_f64 v[51:52], v[51:52], v[57:58]
	s_clause 0x1
	buffer_load_dword v57, off, s[60:63], 0 offset:648
	buffer_load_dword v58, off, s[60:63], 0 offset:652
	s_waitcnt vmcnt(0)
	v_fma_f64 v[57:58], v[207:208], s[28:29], -v[57:58]
	v_add_f64 v[55:56], v[57:58], v[55:56]
	s_clause 0x1
	buffer_load_dword v57, off, s[60:63], 0 offset:600
	buffer_load_dword v58, off, s[60:63], 0 offset:604
	s_waitcnt vmcnt(0)
	v_add_f64 v[49:50], v[49:50], v[57:58]
	s_clause 0x1
	buffer_load_dword v57, off, s[60:63], 0 offset:584
	buffer_load_dword v58, off, s[60:63], 0 offset:588
	s_waitcnt vmcnt(0)
	v_add_f64 v[51:52], v[51:52], v[57:58]
	s_clause 0x1
	buffer_load_dword v57, off, s[60:63], 0 offset:664
	buffer_load_dword v58, off, s[60:63], 0 offset:668
	s_waitcnt vmcnt(0)
	v_fma_f64 v[57:58], v[209:210], s[18:19], -v[57:58]
	v_add_f64 v[55:56], v[57:58], v[55:56]
	s_clause 0x1
	buffer_load_dword v57, off, s[60:63], 0 offset:576
	buffer_load_dword v58, off, s[60:63], 0 offset:580
	s_waitcnt vmcnt(0)
	v_add_f64 v[49:50], v[49:50], v[57:58]
	s_clause 0x1
	buffer_load_dword v57, off, s[60:63], 0 offset:560
	buffer_load_dword v58, off, s[60:63], 0 offset:564
	s_waitcnt vmcnt(0)
	v_add_f64 v[51:52], v[51:52], v[57:58]
	s_clause 0x1
	buffer_load_dword v57, off, s[60:63], 0 offset:672
	buffer_load_dword v58, off, s[60:63], 0 offset:676
	s_waitcnt vmcnt(0)
	v_fma_f64 v[57:58], v[213:214], s[24:25], -v[57:58]
	v_add_f64 v[55:56], v[57:58], v[55:56]
	s_clause 0x1
	buffer_load_dword v57, off, s[60:63], 0 offset:528
	buffer_load_dword v58, off, s[60:63], 0 offset:532
	s_waitcnt vmcnt(0)
	v_add_f64 v[49:50], v[49:50], v[57:58]
	s_clause 0x1
	buffer_load_dword v57, off, s[60:63], 0 offset:512
	buffer_load_dword v58, off, s[60:63], 0 offset:516
	s_waitcnt vmcnt(0)
	v_add_f64 v[51:52], v[51:52], v[57:58]
	s_clause 0x3
	buffer_load_dword v57, off, s[60:63], 0 offset:360
	buffer_load_dword v58, off, s[60:63], 0 offset:364
	;; [unrolled: 1-line block ×4, first 2 shown]
	s_waitcnt vmcnt(2)
	v_fma_f64 v[57:58], v[195:196], s[40:41], -v[57:58]
	s_waitcnt vmcnt(0)
	v_fma_f64 v[66:67], v[89:90], s[48:49], v[66:67]
	v_add_f64 v[0:1], v[57:58], v[0:1]
	v_add_f64 v[53:54], v[66:67], v[53:54]
	s_clause 0x1
	buffer_load_dword v66, off, s[60:63], 0 offset:464
	buffer_load_dword v67, off, s[60:63], 0 offset:468
	s_waitcnt vmcnt(0)
	v_add_f64 v[49:50], v[49:50], v[66:67]
	s_clause 0x1
	buffer_load_dword v66, off, s[60:63], 0 offset:456
	buffer_load_dword v67, off, s[60:63], 0 offset:460
	s_waitcnt vmcnt(0)
	v_add_f64 v[51:52], v[51:52], v[66:67]
	s_clause 0x5
	buffer_load_dword v66, off, s[60:63], 0 offset:296
	buffer_load_dword v67, off, s[60:63], 0 offset:300
	;; [unrolled: 1-line block ×6, first 2 shown]
	s_waitcnt vmcnt(4)
	v_fma_f64 v[66:67], v[75:76], s[36:37], v[66:67]
	s_waitcnt vmcnt(2)
	v_fma_f64 v[68:69], v[207:208], s[22:23], -v[68:69]
	s_waitcnt vmcnt(0)
	v_fma_f64 v[57:58], v[217:218], s[38:39], -v[57:58]
	v_mul_f64 v[75:76], v[20:21], v[10:11]
	v_mul_f64 v[10:11], v[16:17], v[10:11]
	v_add_f64 v[14:15], v[66:67], v[14:15]
	v_add_f64 v[0:1], v[68:69], v[0:1]
	;; [unrolled: 1-line block ×3, first 2 shown]
	s_clause 0x1
	buffer_load_dword v57, off, s[60:63], 0 offset:432
	buffer_load_dword v58, off, s[60:63], 0 offset:436
	s_waitcnt vmcnt(0)
	v_add_f64 v[49:50], v[49:50], v[57:58]
	s_clause 0x1
	buffer_load_dword v57, off, s[60:63], 0 offset:424
	buffer_load_dword v58, off, s[60:63], 0 offset:428
	s_waitcnt vmcnt(0)
	v_add_f64 v[51:52], v[51:52], v[57:58]
	s_clause 0x5
	buffer_load_dword v57, off, s[60:63], 0 offset:304
	buffer_load_dword v58, off, s[60:63], 0 offset:308
	;; [unrolled: 1-line block ×6, first 2 shown]
	s_waitcnt vmcnt(4)
	v_fma_f64 v[57:58], v[79:80], s[30:31], v[57:58]
	s_waitcnt vmcnt(2)
	v_fma_f64 v[66:67], v[209:210], s[34:35], -v[66:67]
	s_waitcnt vmcnt(0)
	v_fma_f64 v[68:69], v[189:190], s[46:47], v[68:69]
	v_add_f64 v[14:15], v[57:58], v[14:15]
	v_add_f64 v[0:1], v[66:67], v[0:1]
	;; [unrolled: 1-line block ×3, first 2 shown]
	s_clause 0x1
	buffer_load_dword v68, off, s[60:63], 0 offset:352
	buffer_load_dword v69, off, s[60:63], 0 offset:356
	s_waitcnt vmcnt(0)
	v_add_f64 v[49:50], v[49:50], v[68:69]
	s_clause 0x1
	buffer_load_dword v68, off, s[60:63], 0 offset:336
	buffer_load_dword v69, off, s[60:63], 0 offset:340
	s_waitcnt vmcnt(0)
	v_add_f64 v[51:52], v[51:52], v[68:69]
	s_clause 0x5
	buffer_load_dword v68, off, s[60:63], 0 offset:312
	buffer_load_dword v69, off, s[60:63], 0 offset:316
	;; [unrolled: 1-line block ×6, first 2 shown]
	s_waitcnt vmcnt(4)
	v_fma_f64 v[68:69], v[81:82], s[26:27], v[68:69]
	s_waitcnt vmcnt(2)
	v_fma_f64 v[57:58], v[213:214], s[38:39], -v[57:58]
	s_waitcnt vmcnt(0)
	v_fma_f64 v[66:67], v[221:222], s[22:23], -v[66:67]
	v_mul_f64 v[81:82], v[39:40], v[12:13]
	v_mul_f64 v[12:13], v[37:38], v[12:13]
	v_add_f64 v[14:15], v[68:69], v[14:15]
	v_add_f64 v[0:1], v[57:58], v[0:1]
	v_add_f64 v[55:56], v[66:67], v[55:56]
	s_clause 0x1
	buffer_load_dword v66, off, s[60:63], 0 offset:288
	buffer_load_dword v67, off, s[60:63], 0 offset:292
	s_waitcnt vmcnt(0)
	v_add_f64 v[49:50], v[49:50], v[66:67]
	s_clause 0x1
	buffer_load_dword v66, off, s[60:63], 0 offset:280
	buffer_load_dword v67, off, s[60:63], 0 offset:284
	s_waitcnt vmcnt(0)
	v_add_f64 v[51:52], v[51:52], v[66:67]
	s_clause 0x5
	buffer_load_dword v66, off, s[60:63], 0 offset:320
	buffer_load_dword v67, off, s[60:63], 0 offset:324
	buffer_load_dword v68, off, s[60:63], 0 offset:408
	buffer_load_dword v69, off, s[60:63], 0 offset:412
	buffer_load_dword v57, off, s[60:63], 0 offset:608
	buffer_load_dword v58, off, s[60:63], 0 offset:612
	s_waitcnt vmcnt(4)
	v_fma_f64 v[66:67], v[85:86], s[20:21], v[66:67]
	s_waitcnt vmcnt(2)
	v_fma_f64 v[68:69], v[217:218], s[28:29], -v[68:69]
	s_waitcnt vmcnt(0)
	v_fma_f64 v[57:58], v[199:200], s[12:13], -v[57:58]
	v_add_f64 v[14:15], v[66:67], v[14:15]
	v_add_f64 v[0:1], v[68:69], v[0:1]
	;; [unrolled: 1-line block ×3, first 2 shown]
	s_clause 0x1
	buffer_load_dword v57, off, s[60:63], 0 offset:272
	buffer_load_dword v58, off, s[60:63], 0 offset:276
	s_waitcnt vmcnt(0)
	v_add_f64 v[49:50], v[49:50], v[57:58]
	s_clause 0x1
	buffer_load_dword v57, off, s[60:63], 0 offset:264
	buffer_load_dword v58, off, s[60:63], 0 offset:268
	s_waitcnt vmcnt(0)
	v_add_f64 v[51:52], v[51:52], v[57:58]
	s_clause 0x5
	buffer_load_dword v57, off, s[60:63], 0 offset:328
	buffer_load_dword v58, off, s[60:63], 0 offset:332
	;; [unrolled: 1-line block ×6, first 2 shown]
	s_waitcnt vmcnt(4)
	v_fma_f64 v[57:58], v[89:90], s[14:15], v[57:58]
	s_waitcnt vmcnt(2)
	v_fma_f64 v[66:67], v[221:222], s[24:25], -v[66:67]
	s_waitcnt vmcnt(0)
	v_fma_f64 v[68:69], v[197:198], s[44:45], v[68:69]
	v_add_f64 v[14:15], v[57:58], v[14:15]
	v_add_f64 v[66:67], v[66:67], v[0:1]
	;; [unrolled: 1-line block ×3, first 2 shown]
	s_clause 0x1
	buffer_load_dword v68, off, s[60:63], 0 offset:256
	buffer_load_dword v69, off, s[60:63], 0 offset:260
	v_mul_f64 v[57:58], v[18:19], v[6:7]
	v_mul_f64 v[6:7], v[2:3], v[6:7]
	v_fma_f64 v[2:3], v[2:3], v[4:5], v[57:58]
	v_mul_f64 v[57:58], v[47:48], v[33:34]
	v_mul_f64 v[33:34], v[45:46], v[33:34]
	s_waitcnt vmcnt(0)
	v_add_f64 v[49:50], v[49:50], v[68:69]
	s_clause 0x1
	buffer_load_dword v68, off, s[60:63], 0 offset:248
	buffer_load_dword v69, off, s[60:63], 0 offset:252
	v_mul_f64 v[83:84], v[49:50], v[62:63]
	s_waitcnt vmcnt(0)
	v_add_f64 v[51:52], v[51:52], v[68:69]
	s_clause 0x7
	buffer_load_dword v68, off, s[60:63], 0 offset:344
	buffer_load_dword v69, off, s[60:63], 0 offset:348
	;; [unrolled: 1-line block ×8, first 2 shown]
	v_mul_f64 v[62:63], v[51:52], v[62:63]
	s_waitcnt vmcnt(6)
	v_fma_f64 v[68:69], v[189:190], s[10:11], v[68:69]
	s_waitcnt vmcnt(4)
	v_fma_f64 v[70:71], v[199:200], s[18:19], -v[70:71]
	s_waitcnt vmcnt(2)
	v_mul_f64 v[77:78], v[85:86], v[225:226]
	s_waitcnt vmcnt(0)
	v_fma_f64 v[79:80], v[197:198], s[6:7], v[0:1]
	v_fma_f64 v[0:1], v[18:19], v[4:5], -v[6:7]
	v_fma_f64 v[6:7], v[16:17], v[8:9], v[75:76]
	v_fma_f64 v[4:5], v[20:21], v[8:9], -v[10:11]
	s_clause 0x1
	buffer_load_dword v8, off, s[60:63], 0 offset:72
	buffer_load_dword v9, off, s[60:63], 0 offset:76
	v_mul_f64 v[18:19], v[43:44], v[24:25]
	v_mul_f64 v[24:25], v[41:42], v[24:25]
	v_mul_hi_u32 v16, 0x226b903, v255
	v_fma_f64 v[10:11], v[37:38], v[22:23], v[81:82]
	v_add_f64 v[14:15], v[68:69], v[14:15]
	v_mul_f64 v[68:69], v[55:56], v[73:74]
	v_mul_f64 v[72:73], v[53:54], v[73:74]
	v_add_f64 v[66:67], v[70:71], v[66:67]
	v_add_f64 v[37:38], v[79:80], v[14:15]
	v_fma_f64 v[14:15], v[41:42], v[26:27], v[18:19]
	v_fma_f64 v[18:19], v[45:46], v[35:36], v[57:58]
	v_fma_f64 v[20:21], v[55:56], v[60:61], -v[72:73]
	s_waitcnt vmcnt(0)
	v_mul_f64 v[74:75], v[8:9], v[225:226]
	v_fma_f64 v[76:77], v[223:224], v[8:9], v[77:78]
	buffer_load_dword v8, off, s[60:63], 0 offset:68 ; 4-byte Folded Reload
	v_fma_f64 v[41:42], v[223:224], v[85:86], -v[74:75]
	v_mul_f64 v[45:46], v[37:38], v[76:77]
	s_waitcnt vmcnt(0)
	v_mad_u32_u24 v59, 0x121, v16, v8
	v_fma_f64 v[8:9], v[39:40], v[22:23], -v[12:13]
	v_fma_f64 v[12:13], v[43:44], v[26:27], -v[24:25]
	buffer_load_dword v26, off, s[60:63], 0 ; 4-byte Folded Reload
	v_mov_b32_e32 v24, v102
	v_mad_u64_u32 v[39:40], null, s0, v59, 0
	v_fma_f64 v[16:17], v[47:48], v[35:36], -v[33:34]
	v_fma_f64 v[22:23], v[53:54], v[60:61], v[68:69]
	v_mov_b32_e32 v25, v40
	s_waitcnt vmcnt(0)
	v_mad_u64_u32 v[33:34], null, s3, v26, v[24:25]
	v_fma_f64 v[26:27], v[51:52], v[64:65], v[83:84]
	v_add_nc_u32_e32 v51, 17, v59
	s_lshl_b64 s[2:3], s[4:5], 4
	s_add_u32 s2, s8, s2
	s_addc_u32 s3, s9, s3
	v_mov_b32_e32 v102, v33
	v_mad_u64_u32 v[43:44], null, s0, v51, 0
	v_mov_b32_e32 v28, v44
	v_mad_u64_u32 v[34:35], null, s1, v59, v[25:26]
	v_mul_f64 v[35:36], v[66:67], v[76:77]
	v_fma_f64 v[24:25], v[49:50], v[64:65], -v[62:63]
	v_add_nc_u32_e32 v50, 34, v59
	v_mov_b32_e32 v40, v34
	v_lshlrev_b64 v[33:34], 4, v[101:102]
	v_mad_u64_u32 v[47:48], null, s0, v50, 0
	v_add_co_u32 v53, vcc_lo, s2, v33
	v_add_co_ci_u32_e32 v54, vcc_lo, s3, v34, vcc_lo
	v_lshlrev_b64 v[33:34], 4, v[39:40]
	v_mad_u64_u32 v[39:40], null, s1, v51, v[28:29]
	v_mov_b32_e32 v28, v48
	v_add_nc_u32_e32 v40, 51, v59
	v_fma_f64 v[35:36], v[37:38], v[41:42], v[35:36]
	v_add_co_u32 v48, vcc_lo, v53, v33
	v_mad_u64_u32 v[50:51], null, s1, v50, v[28:29]
	v_add_co_ci_u32_e32 v49, vcc_lo, v54, v34, vcc_lo
	v_mad_u64_u32 v[51:52], null, s0, v40, 0
	v_fma_f64 v[33:34], v[66:67], v[41:42], -v[45:46]
	v_add_nc_u32_e32 v42, 0x44, v59
	global_store_dwordx4 v[48:49], v[24:27], off
	v_mov_b32_e32 v44, v39
	v_add_nc_u32_e32 v45, 0x55, v59
	v_mov_b32_e32 v48, v50
	v_mad_u64_u32 v[27:28], null, s0, v42, 0
	v_mov_b32_e32 v26, v52
	v_lshlrev_b64 v[24:25], 4, v[43:44]
	v_lshlrev_b64 v[37:38], 4, v[47:48]
	v_add_nc_u32_e32 v46, 0x66, v59
	v_mad_u64_u32 v[39:40], null, s1, v40, v[26:27]
	v_mov_b32_e32 v26, v28
	v_mad_u64_u32 v[40:41], null, s0, v45, 0
	v_add_co_u32 v24, vcc_lo, v53, v24
	v_mad_u64_u32 v[42:43], null, s1, v42, v[26:27]
	v_add_co_ci_u32_e32 v25, vcc_lo, v54, v25, vcc_lo
	v_add_co_u32 v37, vcc_lo, v53, v37
	v_mad_u64_u32 v[43:44], null, s0, v46, 0
	v_mov_b32_e32 v26, v41
	v_add_co_ci_u32_e32 v38, vcc_lo, v54, v38, vcc_lo
	v_mov_b32_e32 v52, v39
	v_mov_b32_e32 v28, v42
	global_store_dwordx4 v[24:25], v[33:36], off
	global_store_dwordx4 v[37:38], v[20:23], off
	v_mad_u64_u32 v[22:23], null, s1, v45, v[26:27]
	v_lshlrev_b64 v[20:21], 4, v[51:52]
	v_lshlrev_b64 v[24:25], 4, v[27:28]
	v_mov_b32_e32 v23, v44
	v_add_nc_u32_e32 v26, 0x77, v59
	v_add_nc_u32_e32 v27, 0x99, v59
	;; [unrolled: 1-line block ×3, first 2 shown]
	v_add_co_u32 v20, vcc_lo, v53, v20
	v_mov_b32_e32 v41, v22
	v_mad_u64_u32 v[22:23], null, s1, v46, v[23:24]
	v_add_co_ci_u32_e32 v21, vcc_lo, v54, v21, vcc_lo
	v_add_co_u32 v23, vcc_lo, v53, v24
	v_add_co_ci_u32_e32 v24, vcc_lo, v54, v25, vcc_lo
	global_store_dwordx4 v[20:21], v[16:19], off
	v_mad_u64_u32 v[18:19], null, s0, v26, 0
	v_lshlrev_b64 v[16:17], 4, v[40:41]
	v_mov_b32_e32 v44, v22
	v_add_nc_u32_e32 v25, 0x88, v59
	global_store_dwordx4 v[23:24], v[12:15], off
	v_add_co_u32 v12, vcc_lo, v53, v16
	v_lshlrev_b64 v[15:16], 4, v[43:44]
	v_mad_u64_u32 v[20:21], null, s0, v25, 0
	v_mov_b32_e32 v14, v19
	v_add_co_ci_u32_e32 v13, vcc_lo, v54, v17, vcc_lo
	v_mad_u64_u32 v[22:23], null, s1, v26, v[14:15]
	v_add_co_u32 v14, vcc_lo, v53, v15
	v_add_co_ci_u32_e32 v15, vcc_lo, v54, v16, vcc_lo
	v_mov_b32_e32 v16, v21
	v_mad_u64_u32 v[23:24], null, s0, v27, 0
	global_store_dwordx4 v[12:13], v[8:11], off
	v_mov_b32_e32 v19, v22
	v_mad_u64_u32 v[16:17], null, s1, v25, v[16:17]
	v_mad_u64_u32 v[25:26], null, s0, v28, 0
	v_mov_b32_e32 v8, v24
	global_store_dwordx4 v[14:15], v[4:7], off
	v_lshlrev_b64 v[4:5], 4, v[18:19]
	v_add_nc_u32_e32 v13, 0xbb, v59
	v_mov_b32_e32 v21, v16
	v_mad_u64_u32 v[6:7], null, s1, v27, v[8:9]
	v_mov_b32_e32 v7, v26
	v_add_co_u32 v4, vcc_lo, v53, v4
	v_lshlrev_b64 v[8:9], 4, v[20:21]
	v_add_co_ci_u32_e32 v5, vcc_lo, v54, v5, vcc_lo
	v_mov_b32_e32 v24, v6
	v_add_nc_u32_e32 v15, 0xff, v59
	v_add_nc_u32_e32 v16, 0x110, v59
	v_mad_u64_u32 v[10:11], null, s1, v28, v[7:8]
	v_mad_u64_u32 v[11:12], null, s0, v13, 0
	v_add_co_u32 v6, vcc_lo, v53, v8
	global_store_dwordx4 v[4:5], v[0:3], off
	v_lshlrev_b64 v[1:2], 4, v[23:24]
	v_mov_b32_e32 v26, v10
	v_add_co_ci_u32_e32 v7, vcc_lo, v54, v9, vcc_lo
	v_mov_b32_e32 v0, v12
	v_add_nc_u32_e32 v8, 0xcc, v59
	v_lshlrev_b64 v[3:4], 4, v[25:26]
	global_store_dwordx4 v[6:7], v[95:98], off
	v_add_nc_u32_e32 v10, 0xdd, v59
	v_mad_u64_u32 v[5:6], null, s1, v13, v[0:1]
	v_add_co_u32 v0, vcc_lo, v53, v1
	v_add_co_ci_u32_e32 v1, vcc_lo, v54, v2, vcc_lo
	v_add_co_u32 v2, vcc_lo, v53, v3
	v_add_co_ci_u32_e32 v3, vcc_lo, v54, v4, vcc_lo
	global_store_dwordx4 v[0:1], v[29:32], off
	v_mov_b32_e32 v12, v5
	v_mad_u64_u32 v[4:5], null, s0, v8, 0
	global_store_dwordx4 v[2:3], v[235:238], off
	s_clause 0x3
	buffer_load_dword v17, off, s[60:63], 0 offset:152
	buffer_load_dword v18, off, s[60:63], 0 offset:156
	;; [unrolled: 1-line block ×4, first 2 shown]
	v_lshlrev_b64 v[0:1], 4, v[11:12]
	v_add_nc_u32_e32 v12, 0xee, v59
	v_mad_u64_u32 v[2:3], null, s0, v10, 0
	v_mad_u64_u32 v[6:7], null, s0, v12, 0
	v_add_co_u32 v0, vcc_lo, v53, v0
	v_add_co_ci_u32_e32 v1, vcc_lo, v54, v1, vcc_lo
	v_mad_u64_u32 v[8:9], null, s1, v8, v[5:6]
	v_mad_u64_u32 v[9:10], null, s1, v10, v[3:4]
	v_mov_b32_e32 v3, v7
	v_mad_u64_u32 v[10:11], null, s0, v15, 0
	v_mov_b32_e32 v5, v8
	v_mad_u64_u32 v[12:13], null, s1, v12, v[3:4]
	v_mad_u64_u32 v[13:14], null, s0, v16, 0
	v_mov_b32_e32 v3, v9
	v_lshlrev_b64 v[4:5], 4, v[4:5]
	v_mov_b32_e32 v7, v12
	v_lshlrev_b64 v[2:3], 4, v[2:3]
	v_add_co_u32 v4, vcc_lo, v53, v4
	v_add_co_ci_u32_e32 v5, vcc_lo, v54, v5, vcc_lo
	v_lshlrev_b64 v[6:7], 4, v[6:7]
	s_waitcnt vmcnt(0)
	global_store_dwordx4 v[0:1], v[17:20], off
	v_mov_b32_e32 v0, v11
	v_mad_u64_u32 v[0:1], null, s1, v15, v[0:1]
	v_mov_b32_e32 v1, v14
	v_mad_u64_u32 v[8:9], null, s1, v16, v[1:2]
	v_mov_b32_e32 v11, v0
	v_add_co_u32 v0, vcc_lo, v53, v2
	v_add_co_ci_u32_e32 v1, vcc_lo, v54, v3, vcc_lo
	v_lshlrev_b64 v[2:3], 4, v[10:11]
	v_mov_b32_e32 v14, v8
	v_add_co_u32 v6, vcc_lo, v53, v6
	v_add_co_ci_u32_e32 v7, vcc_lo, v54, v7, vcc_lo
	v_lshlrev_b64 v[8:9], 4, v[13:14]
	s_clause 0x3
	buffer_load_dword v10, off, s[60:63], 0 offset:80
	buffer_load_dword v11, off, s[60:63], 0 offset:84
	;; [unrolled: 1-line block ×4, first 2 shown]
	v_add_co_u32 v2, vcc_lo, v53, v2
	v_add_co_ci_u32_e32 v3, vcc_lo, v54, v3, vcc_lo
	v_add_co_u32 v8, vcc_lo, v53, v8
	v_add_co_ci_u32_e32 v9, vcc_lo, v54, v9, vcc_lo
	s_waitcnt vmcnt(0)
	global_store_dwordx4 v[4:5], v[10:13], off
	s_clause 0x3
	buffer_load_dword v10, off, s[60:63], 0 offset:52
	buffer_load_dword v11, off, s[60:63], 0 offset:56
	buffer_load_dword v12, off, s[60:63], 0 offset:60
	buffer_load_dword v13, off, s[60:63], 0 offset:64
	s_waitcnt vmcnt(0)
	global_store_dwordx4 v[0:1], v[10:13], off
	s_clause 0x3
	buffer_load_dword v10, off, s[60:63], 0 offset:36
	buffer_load_dword v11, off, s[60:63], 0 offset:40
	buffer_load_dword v12, off, s[60:63], 0 offset:44
	buffer_load_dword v13, off, s[60:63], 0 offset:48
	;; [unrolled: 7-line block ×4, first 2 shown]
	s_waitcnt vmcnt(0)
	global_store_dwordx4 v[8:9], v[0:3], off
.LBB0_16:
	s_endpgm
	.section	.rodata,"a",@progbits
	.p2align	6, 0x0
	.amdhsa_kernel fft_rtc_fwd_len289_factors_17_17_wgs_119_tpt_17_dp_ip_CI_sbcc_twdbase5_3step_dirReg_intrinsicRead
		.amdhsa_group_segment_fixed_size 0
		.amdhsa_private_segment_fixed_size 908
		.amdhsa_kernarg_size 96
		.amdhsa_user_sgpr_count 6
		.amdhsa_user_sgpr_private_segment_buffer 1
		.amdhsa_user_sgpr_dispatch_ptr 0
		.amdhsa_user_sgpr_queue_ptr 0
		.amdhsa_user_sgpr_kernarg_segment_ptr 1
		.amdhsa_user_sgpr_dispatch_id 0
		.amdhsa_user_sgpr_flat_scratch_init 0
		.amdhsa_user_sgpr_private_segment_size 0
		.amdhsa_wavefront_size32 1
		.amdhsa_uses_dynamic_stack 0
		.amdhsa_system_sgpr_private_segment_wavefront_offset 1
		.amdhsa_system_sgpr_workgroup_id_x 1
		.amdhsa_system_sgpr_workgroup_id_y 0
		.amdhsa_system_sgpr_workgroup_id_z 0
		.amdhsa_system_sgpr_workgroup_info 0
		.amdhsa_system_vgpr_workitem_id 0
		.amdhsa_next_free_vgpr 256
		.amdhsa_next_free_sgpr 64
		.amdhsa_reserve_vcc 1
		.amdhsa_reserve_flat_scratch 0
		.amdhsa_float_round_mode_32 0
		.amdhsa_float_round_mode_16_64 0
		.amdhsa_float_denorm_mode_32 3
		.amdhsa_float_denorm_mode_16_64 3
		.amdhsa_dx10_clamp 1
		.amdhsa_ieee_mode 1
		.amdhsa_fp16_overflow 0
		.amdhsa_workgroup_processor_mode 1
		.amdhsa_memory_ordered 1
		.amdhsa_forward_progress 0
		.amdhsa_shared_vgpr_count 0
		.amdhsa_exception_fp_ieee_invalid_op 0
		.amdhsa_exception_fp_denorm_src 0
		.amdhsa_exception_fp_ieee_div_zero 0
		.amdhsa_exception_fp_ieee_overflow 0
		.amdhsa_exception_fp_ieee_underflow 0
		.amdhsa_exception_fp_ieee_inexact 0
		.amdhsa_exception_int_div_zero 0
	.end_amdhsa_kernel
	.text
.Lfunc_end0:
	.size	fft_rtc_fwd_len289_factors_17_17_wgs_119_tpt_17_dp_ip_CI_sbcc_twdbase5_3step_dirReg_intrinsicRead, .Lfunc_end0-fft_rtc_fwd_len289_factors_17_17_wgs_119_tpt_17_dp_ip_CI_sbcc_twdbase5_3step_dirReg_intrinsicRead
                                        ; -- End function
	.section	.AMDGPU.csdata,"",@progbits
; Kernel info:
; codeLenInByte = 23436
; NumSgprs: 66
; NumVgprs: 256
; ScratchSize: 908
; MemoryBound: 0
; FloatMode: 240
; IeeeMode: 1
; LDSByteSize: 0 bytes/workgroup (compile time only)
; SGPRBlocks: 8
; VGPRBlocks: 31
; NumSGPRsForWavesPerEU: 66
; NumVGPRsForWavesPerEU: 256
; Occupancy: 4
; WaveLimiterHint : 1
; COMPUTE_PGM_RSRC2:SCRATCH_EN: 1
; COMPUTE_PGM_RSRC2:USER_SGPR: 6
; COMPUTE_PGM_RSRC2:TRAP_HANDLER: 0
; COMPUTE_PGM_RSRC2:TGID_X_EN: 1
; COMPUTE_PGM_RSRC2:TGID_Y_EN: 0
; COMPUTE_PGM_RSRC2:TGID_Z_EN: 0
; COMPUTE_PGM_RSRC2:TIDIG_COMP_CNT: 0
	.text
	.p2alignl 6, 3214868480
	.fill 48, 4, 3214868480
	.type	__hip_cuid_11cf4269069d461d,@object ; @__hip_cuid_11cf4269069d461d
	.section	.bss,"aw",@nobits
	.globl	__hip_cuid_11cf4269069d461d
__hip_cuid_11cf4269069d461d:
	.byte	0                               ; 0x0
	.size	__hip_cuid_11cf4269069d461d, 1

	.ident	"AMD clang version 19.0.0git (https://github.com/RadeonOpenCompute/llvm-project roc-6.4.0 25133 c7fe45cf4b819c5991fe208aaa96edf142730f1d)"
	.section	".note.GNU-stack","",@progbits
	.addrsig
	.addrsig_sym __hip_cuid_11cf4269069d461d
	.amdgpu_metadata
---
amdhsa.kernels:
  - .args:
      - .actual_access:  read_only
        .address_space:  global
        .offset:         0
        .size:           8
        .value_kind:     global_buffer
      - .address_space:  global
        .offset:         8
        .size:           8
        .value_kind:     global_buffer
      - .offset:         16
        .size:           8
        .value_kind:     by_value
      - .actual_access:  read_only
        .address_space:  global
        .offset:         24
        .size:           8
        .value_kind:     global_buffer
      - .actual_access:  read_only
        .address_space:  global
        .offset:         32
        .size:           8
        .value_kind:     global_buffer
      - .offset:         40
        .size:           8
        .value_kind:     by_value
      - .actual_access:  read_only
        .address_space:  global
        .offset:         48
        .size:           8
        .value_kind:     global_buffer
      - .actual_access:  read_only
        .address_space:  global
        .offset:         56
        .size:           8
        .value_kind:     global_buffer
      - .offset:         64
        .size:           4
        .value_kind:     by_value
      - .actual_access:  read_only
        .address_space:  global
        .offset:         72
        .size:           8
        .value_kind:     global_buffer
      - .actual_access:  read_only
        .address_space:  global
        .offset:         80
        .size:           8
        .value_kind:     global_buffer
      - .address_space:  global
        .offset:         88
        .size:           8
        .value_kind:     global_buffer
    .group_segment_fixed_size: 0
    .kernarg_segment_align: 8
    .kernarg_segment_size: 96
    .language:       OpenCL C
    .language_version:
      - 2
      - 0
    .max_flat_workgroup_size: 119
    .name:           fft_rtc_fwd_len289_factors_17_17_wgs_119_tpt_17_dp_ip_CI_sbcc_twdbase5_3step_dirReg_intrinsicRead
    .private_segment_fixed_size: 908
    .sgpr_count:     66
    .sgpr_spill_count: 0
    .symbol:         fft_rtc_fwd_len289_factors_17_17_wgs_119_tpt_17_dp_ip_CI_sbcc_twdbase5_3step_dirReg_intrinsicRead.kd
    .uniform_work_group_size: 1
    .uses_dynamic_stack: false
    .vgpr_count:     256
    .vgpr_spill_count: 226
    .wavefront_size: 32
    .workgroup_processor_mode: 1
amdhsa.target:   amdgcn-amd-amdhsa--gfx1030
amdhsa.version:
  - 1
  - 2
...

	.end_amdgpu_metadata
